;; amdgpu-corpus repo=ROCm/rocFFT kind=compiled arch=gfx906 opt=O3
	.text
	.amdgcn_target "amdgcn-amd-amdhsa--gfx906"
	.amdhsa_code_object_version 6
	.protected	fft_rtc_back_len884_factors_13_4_17_wgs_204_tpt_68_halfLds_half_op_CI_CI_sbrr_dirReg ; -- Begin function fft_rtc_back_len884_factors_13_4_17_wgs_204_tpt_68_halfLds_half_op_CI_CI_sbrr_dirReg
	.globl	fft_rtc_back_len884_factors_13_4_17_wgs_204_tpt_68_halfLds_half_op_CI_CI_sbrr_dirReg
	.p2align	8
	.type	fft_rtc_back_len884_factors_13_4_17_wgs_204_tpt_68_halfLds_half_op_CI_CI_sbrr_dirReg,@function
fft_rtc_back_len884_factors_13_4_17_wgs_204_tpt_68_halfLds_half_op_CI_CI_sbrr_dirReg: ; @fft_rtc_back_len884_factors_13_4_17_wgs_204_tpt_68_halfLds_half_op_CI_CI_sbrr_dirReg
; %bb.0:
	s_load_dwordx4 s[16:19], s[4:5], 0x18
	s_load_dwordx4 s[12:15], s[4:5], 0x0
	;; [unrolled: 1-line block ×3, first 2 shown]
	v_mul_u32_u24_e32 v1, 0x3c4, v0
	v_lshrrev_b32_e32 v1, 16, v1
	s_waitcnt lgkmcnt(0)
	s_load_dwordx2 s[2:3], s[16:17], 0x0
	s_load_dwordx2 s[20:21], s[18:19], 0x0
	v_mad_u64_u32 v[1:2], s[0:1], s6, 3, v[1:2]
	v_mov_b32_e32 v5, 0
	v_mov_b32_e32 v3, 0
	;; [unrolled: 1-line block ×3, first 2 shown]
	v_cmp_lt_u64_e64 s[0:1], s[14:15], 2
	v_mov_b32_e32 v4, 0
	v_mov_b32_e32 v13, v4
	;; [unrolled: 1-line block ×3, first 2 shown]
	s_and_b64 vcc, exec, s[0:1]
	v_mov_b32_e32 v12, v3
	v_mov_b32_e32 v14, v1
	s_cbranch_vccnz .LBB0_8
; %bb.1:
	s_load_dwordx2 s[0:1], s[4:5], 0x10
	s_add_u32 s6, s18, 8
	s_addc_u32 s7, s19, 0
	s_add_u32 s22, s16, 8
	v_mov_b32_e32 v3, 0
	s_addc_u32 s23, s17, 0
	v_mov_b32_e32 v4, 0
	s_waitcnt lgkmcnt(0)
	s_add_u32 s24, s0, 8
	v_mov_b32_e32 v13, v4
	v_mov_b32_e32 v8, v2
	s_addc_u32 s25, s1, 0
	s_mov_b64 s[26:27], 1
	v_mov_b32_e32 v12, v3
	v_mov_b32_e32 v7, v1
.LBB0_2:                                ; =>This Inner Loop Header: Depth=1
	s_load_dwordx2 s[28:29], s[24:25], 0x0
                                        ; implicit-def: $vgpr14_vgpr15
	s_waitcnt lgkmcnt(0)
	v_or_b32_e32 v6, s29, v8
	v_cmp_ne_u64_e32 vcc, 0, v[5:6]
	s_and_saveexec_b64 s[0:1], vcc
	s_xor_b64 s[30:31], exec, s[0:1]
	s_cbranch_execz .LBB0_4
; %bb.3:                                ;   in Loop: Header=BB0_2 Depth=1
	v_cvt_f32_u32_e32 v2, s28
	v_cvt_f32_u32_e32 v6, s29
	s_sub_u32 s0, 0, s28
	s_subb_u32 s1, 0, s29
	v_mac_f32_e32 v2, 0x4f800000, v6
	v_rcp_f32_e32 v2, v2
	v_mul_f32_e32 v2, 0x5f7ffffc, v2
	v_mul_f32_e32 v6, 0x2f800000, v2
	v_trunc_f32_e32 v6, v6
	v_mac_f32_e32 v2, 0xcf800000, v6
	v_cvt_u32_f32_e32 v6, v6
	v_cvt_u32_f32_e32 v2, v2
	v_mul_lo_u32 v9, s0, v6
	v_mul_hi_u32 v10, s0, v2
	v_mul_lo_u32 v14, s1, v2
	v_mul_lo_u32 v11, s0, v2
	v_add_u32_e32 v9, v10, v9
	v_add_u32_e32 v9, v9, v14
	v_mul_hi_u32 v10, v2, v11
	v_mul_lo_u32 v14, v2, v9
	v_mul_hi_u32 v16, v2, v9
	v_mul_hi_u32 v15, v6, v11
	v_mul_lo_u32 v11, v6, v11
	v_mul_hi_u32 v17, v6, v9
	v_add_co_u32_e32 v10, vcc, v10, v14
	v_addc_co_u32_e32 v14, vcc, 0, v16, vcc
	v_mul_lo_u32 v9, v6, v9
	v_add_co_u32_e32 v10, vcc, v10, v11
	v_addc_co_u32_e32 v10, vcc, v14, v15, vcc
	v_addc_co_u32_e32 v11, vcc, 0, v17, vcc
	v_add_co_u32_e32 v9, vcc, v10, v9
	v_addc_co_u32_e32 v10, vcc, 0, v11, vcc
	v_add_co_u32_e32 v2, vcc, v2, v9
	v_addc_co_u32_e32 v6, vcc, v6, v10, vcc
	v_mul_lo_u32 v9, s0, v6
	v_mul_hi_u32 v10, s0, v2
	v_mul_lo_u32 v11, s1, v2
	v_mul_lo_u32 v14, s0, v2
	v_add_u32_e32 v9, v10, v9
	v_add_u32_e32 v9, v9, v11
	v_mul_lo_u32 v15, v2, v9
	v_mul_hi_u32 v16, v2, v14
	v_mul_hi_u32 v17, v2, v9
	;; [unrolled: 1-line block ×3, first 2 shown]
	v_mul_lo_u32 v14, v6, v14
	v_mul_hi_u32 v10, v6, v9
	v_add_co_u32_e32 v15, vcc, v16, v15
	v_addc_co_u32_e32 v16, vcc, 0, v17, vcc
	v_mul_lo_u32 v9, v6, v9
	v_add_co_u32_e32 v14, vcc, v15, v14
	v_addc_co_u32_e32 v11, vcc, v16, v11, vcc
	v_addc_co_u32_e32 v10, vcc, 0, v10, vcc
	v_add_co_u32_e32 v9, vcc, v11, v9
	v_addc_co_u32_e32 v10, vcc, 0, v10, vcc
	v_add_co_u32_e32 v2, vcc, v2, v9
	v_addc_co_u32_e32 v6, vcc, v6, v10, vcc
	v_mad_u64_u32 v[9:10], s[0:1], v7, v6, 0
	v_mul_hi_u32 v11, v7, v2
	v_mad_u64_u32 v[14:15], s[0:1], v8, v6, 0
	v_add_co_u32_e32 v11, vcc, v11, v9
	v_addc_co_u32_e32 v16, vcc, 0, v10, vcc
	v_mad_u64_u32 v[9:10], s[0:1], v8, v2, 0
	v_add_co_u32_e32 v2, vcc, v11, v9
	v_addc_co_u32_e32 v2, vcc, v16, v10, vcc
	v_addc_co_u32_e32 v6, vcc, 0, v15, vcc
	v_add_co_u32_e32 v2, vcc, v2, v14
	v_addc_co_u32_e32 v6, vcc, 0, v6, vcc
	v_mul_lo_u32 v11, s29, v2
	v_mul_lo_u32 v14, s28, v6
	v_mad_u64_u32 v[9:10], s[0:1], s28, v2, 0
	v_add3_u32 v10, v10, v14, v11
	v_sub_u32_e32 v11, v8, v10
	v_mov_b32_e32 v14, s29
	v_sub_co_u32_e32 v9, vcc, v7, v9
	v_subb_co_u32_e64 v11, s[0:1], v11, v14, vcc
	v_subrev_co_u32_e64 v14, s[0:1], s28, v9
	v_subbrev_co_u32_e64 v11, s[0:1], 0, v11, s[0:1]
	v_cmp_le_u32_e64 s[0:1], s29, v11
	v_cndmask_b32_e64 v15, 0, -1, s[0:1]
	v_cmp_le_u32_e64 s[0:1], s28, v14
	v_cndmask_b32_e64 v14, 0, -1, s[0:1]
	v_cmp_eq_u32_e64 s[0:1], s29, v11
	v_cndmask_b32_e64 v11, v15, v14, s[0:1]
	v_add_co_u32_e64 v14, s[0:1], 2, v2
	v_addc_co_u32_e64 v15, s[0:1], 0, v6, s[0:1]
	v_add_co_u32_e64 v16, s[0:1], 1, v2
	v_addc_co_u32_e64 v17, s[0:1], 0, v6, s[0:1]
	v_subb_co_u32_e32 v10, vcc, v8, v10, vcc
	v_cmp_ne_u32_e64 s[0:1], 0, v11
	v_cmp_le_u32_e32 vcc, s29, v10
	v_cndmask_b32_e64 v11, v17, v15, s[0:1]
	v_cndmask_b32_e64 v15, 0, -1, vcc
	v_cmp_le_u32_e32 vcc, s28, v9
	v_cndmask_b32_e64 v9, 0, -1, vcc
	v_cmp_eq_u32_e32 vcc, s29, v10
	v_cndmask_b32_e32 v9, v15, v9, vcc
	v_cmp_ne_u32_e32 vcc, 0, v9
	v_cndmask_b32_e32 v15, v6, v11, vcc
	v_cndmask_b32_e64 v6, v16, v14, s[0:1]
	v_cndmask_b32_e32 v14, v2, v6, vcc
.LBB0_4:                                ;   in Loop: Header=BB0_2 Depth=1
	s_andn2_saveexec_b64 s[0:1], s[30:31]
	s_cbranch_execz .LBB0_6
; %bb.5:                                ;   in Loop: Header=BB0_2 Depth=1
	v_cvt_f32_u32_e32 v2, s28
	s_sub_i32 s30, 0, s28
	v_mov_b32_e32 v15, v5
	v_rcp_iflag_f32_e32 v2, v2
	v_mul_f32_e32 v2, 0x4f7ffffe, v2
	v_cvt_u32_f32_e32 v2, v2
	v_mul_lo_u32 v6, s30, v2
	v_mul_hi_u32 v6, v2, v6
	v_add_u32_e32 v2, v2, v6
	v_mul_hi_u32 v2, v7, v2
	v_mul_lo_u32 v6, v2, s28
	v_add_u32_e32 v9, 1, v2
	v_sub_u32_e32 v6, v7, v6
	v_subrev_u32_e32 v10, s28, v6
	v_cmp_le_u32_e32 vcc, s28, v6
	v_cndmask_b32_e32 v6, v6, v10, vcc
	v_cndmask_b32_e32 v2, v2, v9, vcc
	v_add_u32_e32 v9, 1, v2
	v_cmp_le_u32_e32 vcc, s28, v6
	v_cndmask_b32_e32 v14, v2, v9, vcc
.LBB0_6:                                ;   in Loop: Header=BB0_2 Depth=1
	s_or_b64 exec, exec, s[0:1]
	v_mul_lo_u32 v2, v15, s28
	v_mul_lo_u32 v6, v14, s29
	v_mad_u64_u32 v[9:10], s[0:1], v14, s28, 0
	s_load_dwordx2 s[0:1], s[22:23], 0x0
	s_load_dwordx2 s[28:29], s[6:7], 0x0
	v_add3_u32 v2, v10, v6, v2
	v_sub_co_u32_e32 v6, vcc, v7, v9
	v_subb_co_u32_e32 v2, vcc, v8, v2, vcc
	s_waitcnt lgkmcnt(0)
	v_mul_lo_u32 v7, s0, v2
	v_mul_lo_u32 v8, s1, v6
	v_mad_u64_u32 v[3:4], s[0:1], s0, v6, v[3:4]
	s_add_u32 s26, s26, 1
	s_addc_u32 s27, s27, 0
	s_add_u32 s6, s6, 8
	v_mul_lo_u32 v2, s28, v2
	v_mul_lo_u32 v9, s29, v6
	v_mad_u64_u32 v[12:13], s[0:1], s28, v6, v[12:13]
	v_add3_u32 v4, v8, v4, v7
	s_addc_u32 s7, s7, 0
	v_mov_b32_e32 v6, s14
	s_add_u32 s22, s22, 8
	v_mov_b32_e32 v7, s15
	s_addc_u32 s23, s23, 0
	v_cmp_ge_u64_e32 vcc, s[26:27], v[6:7]
	s_add_u32 s24, s24, 8
	v_add3_u32 v13, v9, v13, v2
	s_addc_u32 s25, s25, 0
	s_cbranch_vccnz .LBB0_8
; %bb.7:                                ;   in Loop: Header=BB0_2 Depth=1
	v_mov_b32_e32 v7, v14
	v_mov_b32_e32 v8, v15
	s_branch .LBB0_2
.LBB0_8:
	s_load_dwordx2 s[0:1], s[4:5], 0x28
	s_lshl_b64 s[14:15], s[14:15], 3
	s_add_u32 s4, s18, s14
	s_addc_u32 s5, s19, s15
                                        ; implicit-def: $sgpr18
                                        ; implicit-def: $vgpr16
                                        ; implicit-def: $vgpr2
                                        ; implicit-def: $vgpr6
                                        ; implicit-def: $vgpr17
	s_waitcnt lgkmcnt(0)
	v_cmp_gt_u64_e32 vcc, s[0:1], v[14:15]
	v_cmp_le_u64_e64 s[0:1], s[0:1], v[14:15]
	s_and_saveexec_b64 s[6:7], s[0:1]
	s_xor_b64 s[0:1], exec, s[6:7]
; %bb.9:
	s_mov_b32 s6, 0x3c3c3c4
	v_mul_hi_u32 v2, v0, s6
	s_mov_b32 s18, 0
                                        ; implicit-def: $vgpr3_vgpr4
	v_mul_u32_u24_e32 v2, 0x44, v2
	v_sub_u32_e32 v16, v0, v2
	v_add_u32_e32 v2, 0x44, v16
	v_add_u32_e32 v6, 0x88, v16
	v_add_u32_e32 v17, 0xcc, v16
                                        ; implicit-def: $vgpr0
; %bb.10:
	s_or_saveexec_b64 s[6:7], s[0:1]
	v_mov_b32_e32 v5, s18
                                        ; implicit-def: $vgpr33
                                        ; implicit-def: $vgpr7
                                        ; implicit-def: $vgpr34
                                        ; implicit-def: $vgpr8
                                        ; implicit-def: $vgpr35
                                        ; implicit-def: $vgpr9
                                        ; implicit-def: $vgpr37
                                        ; implicit-def: $vgpr10
                                        ; implicit-def: $vgpr38
                                        ; implicit-def: $vgpr11
                                        ; implicit-def: $vgpr39
                                        ; implicit-def: $vgpr25
                                        ; implicit-def: $vgpr41
                                        ; implicit-def: $vgpr26
                                        ; implicit-def: $vgpr42
                                        ; implicit-def: $vgpr31
                                        ; implicit-def: $vgpr46
                                        ; implicit-def: $vgpr32
                                        ; implicit-def: $vgpr51
                                        ; implicit-def: $vgpr36
                                        ; implicit-def: $vgpr53
                                        ; implicit-def: $vgpr40
                                        ; implicit-def: $vgpr55
                                        ; implicit-def: $vgpr43
	s_xor_b64 exec, exec, s[6:7]
	s_cbranch_execz .LBB0_12
; %bb.11:
	s_add_u32 s0, s16, s14
	s_mov_b32 s14, 0x3c3c3c4
	v_mul_hi_u32 v2, v0, s14
	s_addc_u32 s1, s17, s15
	s_load_dwordx2 s[0:1], s[0:1], 0x0
	v_lshlrev_b64 v[3:4], 2, v[3:4]
	v_mul_u32_u24_e32 v2, 0x44, v2
	v_sub_u32_e32 v16, v0, v2
	v_mad_u64_u32 v[5:6], s[14:15], s2, v16, 0
	s_waitcnt lgkmcnt(0)
	v_mul_lo_u32 v2, s1, v14
	v_mul_lo_u32 v11, s0, v15
	v_mad_u64_u32 v[7:8], s[0:1], s0, v14, 0
	v_mov_b32_e32 v0, v6
	v_mad_u64_u32 v[9:10], s[0:1], s3, v16, v[0:1]
	v_add3_u32 v8, v8, v11, v2
	v_lshlrev_b64 v[7:8], 2, v[7:8]
	v_mov_b32_e32 v6, v9
	v_mov_b32_e32 v0, s9
	v_add_co_u32_e64 v9, s[0:1], s8, v7
	v_add_u32_e32 v2, 0x44, v16
	v_addc_co_u32_e64 v0, s[0:1], v0, v8, s[0:1]
	v_mad_u64_u32 v[7:8], s[0:1], s2, v2, 0
	v_add_co_u32_e64 v39, s[0:1], v9, v3
	v_addc_co_u32_e64 v40, s[0:1], v0, v4, s[0:1]
	v_mov_b32_e32 v0, v8
	v_lshlrev_b64 v[3:4], 2, v[5:6]
	v_mad_u64_u32 v[5:6], s[0:1], s3, v2, v[0:1]
	v_add_u32_e32 v6, 0x88, v16
	v_mad_u64_u32 v[9:10], s[0:1], s2, v6, 0
	v_add_co_u32_e64 v3, s[0:1], v39, v3
	v_add_u32_e32 v17, 0xcc, v16
	v_addc_co_u32_e64 v4, s[0:1], v40, v4, s[0:1]
	v_mov_b32_e32 v0, v10
	v_mad_u64_u32 v[18:19], s[0:1], s2, v17, 0
	v_mov_b32_e32 v8, v5
	v_mad_u64_u32 v[10:11], s[0:1], s3, v6, v[0:1]
	v_lshlrev_b64 v[7:8], 2, v[7:8]
	v_mov_b32_e32 v0, v19
	v_add_co_u32_e64 v20, s[0:1], v39, v7
	v_addc_co_u32_e64 v21, s[0:1], v40, v8, s[0:1]
	v_lshlrev_b64 v[7:8], 2, v[9:10]
	v_mad_u64_u32 v[9:10], s[0:1], s3, v17, v[0:1]
	v_add_u32_e32 v5, 0x110, v16
	v_mad_u64_u32 v[10:11], s[0:1], s2, v5, 0
	v_add_co_u32_e64 v22, s[0:1], v39, v7
	v_mov_b32_e32 v19, v9
	v_mov_b32_e32 v0, v11
	v_addc_co_u32_e64 v23, s[0:1], v40, v8, s[0:1]
	v_lshlrev_b64 v[7:8], 2, v[18:19]
	v_mad_u64_u32 v[18:19], s[0:1], s3, v5, v[0:1]
	v_add_u32_e32 v5, 0x154, v16
	v_mad_u64_u32 v[24:25], s[0:1], s2, v5, 0
	v_add_co_u32_e64 v27, s[0:1], v39, v7
	v_mov_b32_e32 v11, v18
	v_mov_b32_e32 v0, v25
	;; [unrolled: 8-line block ×4, first 2 shown]
	v_addc_co_u32_e64 v30, s[0:1], v40, v8, s[0:1]
	v_lshlrev_b64 v[7:8], 2, v[10:11]
	v_mad_u64_u32 v[9:10], s[0:1], s3, v5, v[0:1]
	v_add_co_u32_e64 v31, s[0:1], v39, v7
	v_add_u32_e32 v5, 0x220, v16
	v_addc_co_u32_e64 v32, s[0:1], v40, v8, s[0:1]
	v_mad_u64_u32 v[33:34], s[0:1], s2, v5, 0
	v_mov_b32_e32 v26, v9
	v_lshlrev_b64 v[7:8], 2, v[25:26]
	v_mov_b32_e32 v0, v34
	v_add_co_u32_e64 v35, s[0:1], v39, v7
	v_addc_co_u32_e64 v36, s[0:1], v40, v8, s[0:1]
	v_mad_u64_u32 v[24:25], s[0:1], s3, v5, v[0:1]
	v_add_u32_e32 v5, 0x264, v16
	v_mad_u64_u32 v[37:38], s[0:1], s2, v5, 0
	global_load_dword v7, v[20:21], off
	global_load_dword v8, v[22:23], off
	;; [unrolled: 1-line block ×7, first 2 shown]
	v_mov_b32_e32 v34, v24
	v_mov_b32_e32 v0, v38
	v_mad_u64_u32 v[20:21], s[0:1], s3, v5, v[0:1]
	v_add_u32_e32 v5, 0x2a8, v16
	v_mad_u64_u32 v[21:22], s[0:1], s2, v5, 0
	v_lshlrev_b64 v[18:19], 2, v[33:34]
	v_mov_b32_e32 v38, v20
	v_add_co_u32_e64 v18, s[0:1], v39, v18
	v_mov_b32_e32 v0, v22
	v_addc_co_u32_e64 v19, s[0:1], v40, v19, s[0:1]
	v_mad_u64_u32 v[27:28], s[0:1], s3, v5, v[0:1]
	v_add_u32_e32 v5, 0x2ec, v16
	v_mad_u64_u32 v[28:29], s[0:1], s2, v5, 0
	v_lshlrev_b64 v[23:24], 2, v[37:38]
	v_mov_b32_e32 v22, v27
	v_add_co_u32_e64 v23, s[0:1], v39, v23
	v_mov_b32_e32 v0, v29
	v_addc_co_u32_e64 v24, s[0:1], v40, v24, s[0:1]
	v_mad_u64_u32 v[29:30], s[0:1], s3, v5, v[0:1]
	v_add_u32_e32 v5, 0x330, v16
	v_mad_u64_u32 v[30:31], s[0:1], s2, v5, 0
	v_lshlrev_b64 v[20:21], 2, v[21:22]
	v_lshlrev_b64 v[27:28], 2, v[28:29]
	v_add_co_u32_e64 v20, s[0:1], v39, v20
	v_mov_b32_e32 v0, v31
	v_addc_co_u32_e64 v21, s[0:1], v40, v21, s[0:1]
	v_mad_u64_u32 v[31:32], s[0:1], s3, v5, v[0:1]
	v_add_co_u32_e64 v27, s[0:1], v39, v27
	v_lshlrev_b64 v[29:30], 2, v[30:31]
	v_addc_co_u32_e64 v28, s[0:1], v40, v28, s[0:1]
	v_add_co_u32_e64 v29, s[0:1], v39, v29
	v_addc_co_u32_e64 v30, s[0:1], v40, v30, s[0:1]
	global_load_dword v31, v[18:19], off
	global_load_dword v32, v[23:24], off
	;; [unrolled: 1-line block ×6, first 2 shown]
	s_waitcnt vmcnt(12)
	v_lshrrev_b32_e32 v33, 16, v7
	s_waitcnt vmcnt(11)
	v_lshrrev_b32_e32 v34, 16, v8
	;; [unrolled: 2-line block ×12, first 2 shown]
.LBB0_12:
	s_or_b64 exec, exec, s[6:7]
	s_mov_b32 s0, 0xaaaaaaab
	v_mul_hi_u32 v0, v1, s0
	v_sub_f16_e32 v4, v33, v55
	s_mov_b32 s24, 0xba95b770
	v_add_f16_e32 v3, v7, v43
	v_lshrrev_b32_e32 v0, 1, v0
	v_lshl_add_u32 v0, v0, 1, v0
	v_sub_u32_e32 v0, v1, v0
	v_sub_f16_e32 v1, v34, v53
	s_mov_b32 s6, 0x388b3b15
	v_pk_mul_f16 v23, v4, s24 op_sel_hi:[0,1]
	s_mov_b32 s26, 0xbb7bba95
	v_add_f16_e32 v22, v8, v40
	v_pk_fma_f16 v18, v3, s6, v23 op_sel_hi:[0,1,1]
	s_mov_b32 s7, 0xb5ac388b
	v_pk_mul_f16 v24, v1, s26 op_sel_hi:[0,1]
	s_mov_b32 s28, 0xb3a8bbf1
	v_sub_f16_e32 v20, v35, v51
	s_waitcnt vmcnt(0)
	v_pk_add_f16 v18, v18, v5 op_sel_hi:[1,0]
	v_pk_fma_f16 v19, v22, s7, v24 op_sel_hi:[0,1,1]
	s_mov_b32 s8, 0xbbc42fb7
	v_add_f16_e32 v27, v9, v36
	v_pk_mul_f16 v28, v20, s28 op_sel_hi:[0,1]
	s_mov_b32 s33, 0x394ebb7b
	v_sub_f16_e32 v21, v37, v46
	v_pk_add_f16 v18, v19, v18
	v_pk_fma_f16 v19, v27, s8, v28 op_sel_hi:[0,1,1]
	s_mov_b32 s15, 0xb9fdb5ac
	v_add_f16_e32 v29, v10, v32
	v_pk_mul_f16 v30, v21, s33 op_sel_hi:[0,1]
	s_mov_b32 s37, 0x3bf1b94e
	v_sub_f16_e32 v45, v38, v42
	v_pk_add_f16 v18, v19, v18
	v_pk_fma_f16 v19, v29, s15, v30 op_sel_hi:[0,1,1]
	s_mov_b32 s19, 0x2fb7b9fd
	v_add_f16_e32 v44, v11, v31
	v_pk_mul_f16 v47, v45, s37 op_sel_hi:[0,1]
	s_mov_b32 s30, 0xbb7bbbf1
	v_pk_add_f16 v18, v19, v18
	v_pk_fma_f16 v19, v44, s19, v47 op_sel_hi:[0,1,1]
	s_mov_b32 s9, 0xb5ac2fb7
	v_pk_mul_f16 v48, v4, s30 op_sel_hi:[0,1]
	s_mov_b32 s34, 0x394eb3a8
	v_pk_add_f16 v18, v19, v18
	v_pk_fma_f16 v19, v3, s9, v48 op_sel_hi:[0,1,1]
	s_mov_b32 s14, 0xb9fdbbc4
	v_pk_mul_f16 v49, v1, s34 op_sel_hi:[0,1]
	v_pk_add_f16 v19, v19, v5 op_sel_hi:[1,0]
	v_pk_fma_f16 v50, v22, s14, v49 op_sel_hi:[0,1,1]
	s_mov_b32 s36, 0x37703b7b
	v_pk_add_f16 v19, v50, v19
	s_mov_b32 s16, 0x3b15b5ac
	v_pk_mul_f16 v50, v20, s36 op_sel_hi:[0,1]
	v_pk_fma_f16 v52, v27, s16, v50 op_sel_hi:[0,1,1]
	s_mov_b32 s38, 0xbbf13770
	v_pk_add_f16 v19, v52, v19
	s_mov_b32 s18, 0x2fb73b15
	v_pk_mul_f16 v52, v21, s38 op_sel_hi:[0,1]
	;; [unrolled: 5-line block ×3, first 2 shown]
	v_pk_fma_f16 v56, v44, s23, v54 op_sel_hi:[0,1,1]
	s_mov_b32 s48, 0x3770b3a8
	v_sub_f16_e32 v57, v39, v41
	v_pk_add_f16 v19, v56, v19
	s_mov_b32 s47, 0x3b15bbc4
	s_mov_b32 s43, 0x3a95b94e
	v_add_f16_e32 v56, v25, v26
	v_pk_mul_f16 v58, v57, s48 op_sel_hi:[0,1]
	s_mov_b32 s39, 0xb3a8b94e
	s_mov_b32 s29, 0x388bb9fd
	v_pk_fma_f16 v59, v56, s47, v58 op_sel_hi:[0,1,1]
	v_pk_mul_f16 v60, v57, s43 op_sel_hi:[0,1]
	s_mov_b32 s17, 0xbbc4b9fd
	v_pk_mul_f16 v4, v4, s39 op_sel_hi:[0,1]
	s_mov_b32 s41, 0x37703bf1
	v_pk_fma_f16 v61, v56, s29, v60 op_sel_hi:[0,1,1]
	v_pk_add_f16 v18, v59, v18
	v_pk_fma_f16 v59, v3, s17, v4 op_sel_hi:[0,1,1]
	s_mov_b32 s22, 0x3b152fb7
	v_pk_mul_f16 v1, v1, s41 op_sel_hi:[0,1]
	v_pk_add_f16 v19, v61, v19
	v_pk_add_f16 v59, v59, v5 op_sel_hi:[1,0]
	v_pk_fma_f16 v61, v22, s22, v1 op_sel_hi:[0,1,1]
	s_mov_b32 s42, 0xb94eba95
	v_pk_fma_f16 v4, v3, s17, v4 op_sel_hi:[0,1,1] neg_lo:[0,0,1] neg_hi:[0,0,1]
	v_pk_add_f16 v59, v61, v59
	s_mov_b32 s25, 0xb9fd388b
	v_pk_mul_f16 v61, v20, s42 op_sel_hi:[0,1]
	s_mov_b32 s44, 0x3a9533a8
	v_pk_add_f16 v4, v4, v5 op_sel_hi:[1,0]
	v_pk_fma_f16 v1, v22, s22, v1 op_sel_hi:[0,1,1] neg_lo:[0,0,1] neg_hi:[0,0,1]
	s_mov_b32 s27, 0x388bbbc4
	v_pk_mul_f16 v21, v21, s44 op_sel_hi:[0,1]
	s_mov_b32 s45, 0xbb7b3770
	v_pk_add_f16 v1, v1, v4
	v_pk_fma_f16 v4, v27, s25, v61 op_sel_hi:[0,1,1] neg_lo:[0,0,1] neg_hi:[0,0,1]
	s_mov_b32 s31, 0xb5ac3b15
	v_pk_mul_f16 v45, v45, s45 op_sel_hi:[0,1]
	s_mov_b32 s46, 0x3bf1bb7b
	v_pk_add_f16 v1, v4, v1
	v_pk_fma_f16 v4, v29, s27, v21 op_sel_hi:[0,1,1] neg_lo:[0,0,1] neg_hi:[0,0,1]
	s_mov_b32 s35, 0x2fb7b5ac
	v_pk_mul_f16 v57, v57, s46 op_sel_hi:[0,1]
	v_pk_add_f16 v1, v4, v1
	v_pk_fma_f16 v4, v44, s31, v45 op_sel_hi:[0,1,1] neg_lo:[0,0,1] neg_hi:[0,0,1]
	v_pk_add_f16 v1, v4, v1
	v_pk_fma_f16 v4, v56, s35, v57 op_sel_hi:[0,1,1] neg_lo:[0,0,1] neg_hi:[0,0,1]
	v_pk_fma_f16 v20, v27, s25, v61 op_sel_hi:[0,1,1]
	v_pk_add_f16 v1, v4, v1
	v_pk_add_f16 v20, v20, v59
	v_pk_fma_f16 v59, v29, s27, v21 op_sel_hi:[0,1,1]
	v_alignbit_b32 v21, v1, v1, 16
	v_add_f16_e32 v1, v7, v5
	v_add_f16_e32 v1, v8, v1
	;; [unrolled: 1-line block ×8, first 2 shown]
	v_pk_add_f16 v20, v59, v20
	v_pk_fma_f16 v59, v44, s31, v45 op_sel_hi:[0,1,1]
	v_add_f16_e32 v1, v32, v1
	v_pk_add_f16 v20, v59, v20
	v_pk_fma_f16 v59, v56, s35, v57 op_sel_hi:[0,1,1]
	v_mul_u32_u24_e32 v57, 0x374, v0
	v_add_f16_e32 v1, v36, v1
	v_lshl_add_u32 v45, v57, 1, 0
	v_add_f16_e32 v1, v40, v1
	v_mad_u32_u24 v0, v16, 26, v45
	v_add_f16_e32 v1, v43, v1
	ds_write_b16 v0, v1
	v_pk_fma_f16 v1, v3, s9, v48 op_sel_hi:[0,1,1] neg_lo:[0,0,1] neg_hi:[0,0,1]
	v_pk_add_f16 v1, v1, v5 op_sel_hi:[1,0]
	v_pk_fma_f16 v4, v22, s14, v49 op_sel_hi:[0,1,1] neg_lo:[0,0,1] neg_hi:[0,0,1]
	v_pk_add_f16 v1, v4, v1
	v_pk_fma_f16 v4, v27, s16, v50 op_sel_hi:[0,1,1] neg_lo:[0,0,1] neg_hi:[0,0,1]
	v_pk_add_f16 v1, v4, v1
	;; [unrolled: 2-line block ×4, first 2 shown]
	v_pk_fma_f16 v4, v56, s29, v60 op_sel_hi:[0,1,1] neg_lo:[0,0,1] neg_hi:[0,0,1]
	v_pk_fma_f16 v3, v3, s6, v23 op_sel_hi:[0,1,1] neg_lo:[0,0,1] neg_hi:[0,0,1]
	v_pk_add_f16 v1, v4, v1
	v_pk_fma_f16 v4, v22, s7, v24 op_sel_hi:[0,1,1] neg_lo:[0,0,1] neg_hi:[0,0,1]
	v_pk_add_f16 v3, v3, v5 op_sel_hi:[1,0]
	v_pk_add_f16 v3, v4, v3
	v_pk_fma_f16 v4, v27, s8, v28 op_sel_hi:[0,1,1] neg_lo:[0,0,1] neg_hi:[0,0,1]
	v_pk_add_f16 v3, v4, v3
	v_pk_fma_f16 v4, v29, s15, v30 op_sel_hi:[0,1,1] neg_lo:[0,0,1] neg_hi:[0,0,1]
	v_pk_add_f16 v20, v59, v20
	v_pk_add_f16 v3, v4, v3
	v_pk_fma_f16 v4, v44, s19, v47 op_sel_hi:[0,1,1] neg_lo:[0,0,1] neg_hi:[0,0,1]
	ds_write_b128 v0, v[18:21] offset:2
	v_pk_add_f16 v4, v4, v3
	v_pk_fma_f16 v18, v56, s47, v58 op_sel_hi:[0,1,1] neg_lo:[0,0,1] neg_hi:[0,0,1]
	v_pk_add_f16 v28, v18, v4
	v_alignbit_b32 v3, v1, v1, 16
	v_alignbit_b32 v4, v28, v28, 16
	v_lshl_add_u32 v19, v16, 1, v45
	s_movk_i32 s0, 0xffe8
	s_load_dwordx2 s[4:5], s[4:5], 0x0
	ds_write_b64 v0, v[3:4] offset:18
	s_waitcnt lgkmcnt(0)
	s_barrier
	v_mad_i32_i24 v18, v16, s0, v0
	v_lshl_add_u32 v1, v2, 1, v45
	v_lshl_add_u32 v3, v6, 1, v45
	ds_read_u16 v27, v19
	ds_read_u16 v49, v18 offset:442
	ds_read_u16 v45, v18 offset:578
	;; [unrolled: 1-line block ×8, first 2 shown]
	ds_read_u16 v29, v3
	ds_read_u16 v30, v1
	ds_read_u16 v48, v18 offset:1598
	v_cmp_gt_u32_e64 s[0:1], 17, v16
	v_lshlrev_b32_e32 v20, 1, v57
	v_lshlrev_b32_e32 v4, 1, v17
                                        ; implicit-def: $vgpr52
                                        ; implicit-def: $vgpr24
                                        ; implicit-def: $vgpr54
	s_and_saveexec_b64 s[2:3], s[0:1]
	s_cbranch_execz .LBB0_14
; %bb.13:
	v_add3_u32 v28, 0, v4, v20
	ds_read_u16 v52, v18 offset:850
	ds_read_u16 v24, v18 offset:1292
	ds_read_u16 v28, v28
	ds_read_u16 v54, v18 offset:1734
.LBB0_14:
	s_or_b64 exec, exec, s[2:3]
	v_add_f16_sdwa v56, v33, v5 dst_sel:DWORD dst_unused:UNUSED_PAD src0_sel:DWORD src1_sel:WORD_1
	v_sub_f16_e32 v43, v7, v43
	v_add_f16_e32 v56, v34, v56
	v_add_f16_e32 v33, v33, v55
	v_sub_f16_e32 v40, v8, v40
	v_pk_mul_f16 v8, v43, s24 op_sel_hi:[0,1]
	v_add_f16_e32 v56, v35, v56
	v_add_f16_e32 v34, v34, v53
	v_sub_f16_e32 v26, v25, v26
	v_pk_fma_f16 v7, v33, s6, v8 op_sel_hi:[0,1,1] neg_lo:[0,0,1] neg_hi:[0,0,1]
	v_pk_mul_f16 v25, v40, s26 op_sel_hi:[0,1]
	v_add_f16_e32 v56, v37, v56
	v_sub_f16_e32 v9, v9, v36
	v_add_f16_e32 v36, v37, v46
	v_pk_add_f16 v7, v7, v5 op_sel:[0,1]
	v_pk_fma_f16 v37, v34, s7, v25 op_sel_hi:[0,1,1] neg_lo:[0,0,1] neg_hi:[0,0,1]
	v_add_f16_e32 v35, v35, v51
	v_pk_add_f16 v7, v37, v7
	v_pk_mul_f16 v37, v9, s28 op_sel_hi:[0,1]
	v_add_f16_e32 v56, v38, v56
	v_sub_f16_e32 v10, v10, v32
	v_add_f16_e32 v32, v38, v42
	v_pk_fma_f16 v38, v35, s8, v37 op_sel_hi:[0,1,1] neg_lo:[0,0,1] neg_hi:[0,0,1]
	v_pk_add_f16 v7, v38, v7
	v_pk_mul_f16 v38, v10, s33 op_sel_hi:[0,1]
	v_pk_fma_f16 v8, v33, s6, v8 op_sel_hi:[0,1,1]
	v_add_f16_e32 v56, v39, v56
	v_sub_f16_e32 v11, v11, v31
	v_add_f16_e32 v31, v39, v41
	v_pk_fma_f16 v39, v36, s15, v38 op_sel_hi:[0,1,1] neg_lo:[0,0,1] neg_hi:[0,0,1]
	v_pk_add_f16 v8, v8, v5 op_sel:[0,1]
	v_pk_fma_f16 v25, v34, s7, v25 op_sel_hi:[0,1,1]
	v_pk_add_f16 v7, v39, v7
	v_pk_mul_f16 v39, v11, s37 op_sel_hi:[0,1]
	v_pk_add_f16 v8, v25, v8
	v_pk_fma_f16 v25, v35, s8, v37 op_sel_hi:[0,1,1]
	v_add_f16_e32 v56, v41, v56
	v_pk_fma_f16 v41, v32, s19, v39 op_sel_hi:[0,1,1] neg_lo:[0,0,1] neg_hi:[0,0,1]
	v_pk_add_f16 v8, v25, v8
	v_pk_fma_f16 v25, v36, s15, v38 op_sel_hi:[0,1,1]
	v_pk_add_f16 v7, v41, v7
	v_pk_mul_f16 v41, v26, s48 op_sel_hi:[0,1]
	v_pk_add_f16 v8, v25, v8
	v_pk_fma_f16 v25, v32, s19, v39 op_sel_hi:[0,1,1]
	v_pk_add_f16 v8, v25, v8
	v_pk_fma_f16 v25, v31, s47, v41 op_sel_hi:[0,1,1]
	v_pk_mul_f16 v37, v43, s30 op_sel_hi:[0,1]
	v_pk_add_f16 v25, v25, v8
	v_pk_fma_f16 v8, v33, s9, v37 op_sel_hi:[0,1,1] neg_lo:[0,0,1] neg_hi:[0,0,1]
	v_pk_mul_f16 v38, v40, s34 op_sel_hi:[0,1]
	v_pk_add_f16 v8, v8, v5 op_sel:[0,1]
	v_pk_fma_f16 v39, v34, s14, v38 op_sel_hi:[0,1,1] neg_lo:[0,0,1] neg_hi:[0,0,1]
	v_pk_add_f16 v8, v39, v8
	v_pk_mul_f16 v39, v9, s36 op_sel_hi:[0,1]
	v_add_f16_e32 v56, v42, v56
	v_pk_fma_f16 v42, v31, s47, v41 op_sel_hi:[0,1,1] neg_lo:[0,0,1] neg_hi:[0,0,1]
	v_pk_fma_f16 v41, v35, s16, v39 op_sel_hi:[0,1,1] neg_lo:[0,0,1] neg_hi:[0,0,1]
	v_pk_add_f16 v8, v41, v8
	v_pk_mul_f16 v41, v10, s38 op_sel_hi:[0,1]
	v_pk_fma_f16 v37, v33, s9, v37 op_sel_hi:[0,1,1]
	v_pk_add_f16 v7, v42, v7
	v_pk_fma_f16 v42, v36, s18, v41 op_sel_hi:[0,1,1] neg_lo:[0,0,1] neg_hi:[0,0,1]
	v_pk_add_f16 v37, v37, v5 op_sel:[0,1]
	v_pk_fma_f16 v38, v34, s14, v38 op_sel_hi:[0,1,1]
	v_pk_add_f16 v8, v42, v8
	v_pk_mul_f16 v42, v11, s40 op_sel_hi:[0,1]
	v_pk_add_f16 v37, v38, v37
	v_pk_fma_f16 v38, v35, s16, v39 op_sel_hi:[0,1,1]
	v_add_f16_e32 v56, v46, v56
	v_pk_fma_f16 v46, v32, s23, v42 op_sel_hi:[0,1,1] neg_lo:[0,0,1] neg_hi:[0,0,1]
	v_pk_add_f16 v37, v38, v37
	v_pk_fma_f16 v38, v36, s18, v41 op_sel_hi:[0,1,1]
	v_pk_add_f16 v8, v46, v8
	v_pk_mul_f16 v46, v26, s43 op_sel_hi:[0,1]
	v_pk_add_f16 v37, v38, v37
	v_pk_fma_f16 v38, v32, s23, v42 op_sel_hi:[0,1,1]
	v_pk_add_f16 v37, v38, v37
	v_pk_fma_f16 v38, v31, s29, v46 op_sel_hi:[0,1,1]
	v_pk_add_f16 v37, v38, v37
	v_pk_mul_f16 v38, v43, s39 op_sel_hi:[0,1]
	v_pk_fma_f16 v39, v33, s17, v38 op_sel_hi:[0,1,1] neg_lo:[0,0,1] neg_hi:[0,0,1]
	v_pk_mul_f16 v40, v40, s41 op_sel_hi:[0,1]
	v_pk_add_f16 v39, v39, v5 op_sel:[0,1]
	v_pk_fma_f16 v41, v34, s22, v40 op_sel_hi:[0,1,1] neg_lo:[0,0,1] neg_hi:[0,0,1]
	v_pk_fma_f16 v33, v33, s17, v38 op_sel_hi:[0,1,1]
	v_pk_add_f16 v39, v41, v39
	v_pk_mul_f16 v41, v9, s42 op_sel_hi:[0,1]
	v_pk_add_f16 v5, v33, v5 op_sel:[0,1]
	v_pk_fma_f16 v33, v34, s22, v40 op_sel_hi:[0,1,1]
	v_pk_fma_f16 v9, v35, s25, v41 op_sel_hi:[0,1,1] neg_lo:[0,0,1] neg_hi:[0,0,1]
	v_pk_mul_f16 v10, v10, s44 op_sel_hi:[0,1]
	v_pk_add_f16 v5, v33, v5
	v_pk_fma_f16 v33, v35, s25, v41 op_sel_hi:[0,1,1]
	v_pk_add_f16 v9, v9, v39
	v_pk_fma_f16 v39, v36, s27, v10 op_sel_hi:[0,1,1] neg_lo:[0,0,1] neg_hi:[0,0,1]
	v_pk_mul_f16 v11, v11, s45 op_sel_hi:[0,1]
	v_pk_add_f16 v5, v33, v5
	v_pk_fma_f16 v10, v36, s27, v10 op_sel_hi:[0,1,1]
	v_pk_mul_f16 v26, v26, s46 op_sel_hi:[0,1]
	v_pk_add_f16 v5, v10, v5
	v_pk_fma_f16 v10, v32, s31, v11 op_sel_hi:[0,1,1]
	v_pk_add_f16 v9, v39, v9
	v_pk_fma_f16 v39, v32, s31, v11 op_sel_hi:[0,1,1] neg_lo:[0,0,1] neg_hi:[0,0,1]
	v_pk_add_f16 v5, v10, v5
	v_pk_fma_f16 v10, v31, s35, v26 op_sel_hi:[0,1,1]
	v_add_f16_e32 v56, v51, v56
	v_pk_fma_f16 v51, v31, s29, v46 op_sel_hi:[0,1,1] neg_lo:[0,0,1] neg_hi:[0,0,1]
	v_pk_add_f16 v9, v39, v9
	v_pk_fma_f16 v39, v31, s35, v26 op_sel_hi:[0,1,1] neg_lo:[0,0,1] neg_hi:[0,0,1]
	v_pk_add_f16 v5, v10, v5
	v_add_f16_e32 v56, v53, v56
	v_pk_add_f16 v8, v51, v8
	v_pk_add_f16 v9, v39, v9
	v_alignbit_b32 v10, v5, v5, 16
	v_add_f16_e32 v56, v55, v56
	s_waitcnt lgkmcnt(0)
	s_barrier
	ds_write_b128 v0, v[7:10] offset:2
	v_alignbit_b32 v7, v37, v37, 16
	v_alignbit_b32 v8, v25, v25, 16
	ds_write_b16 v0, v56
	ds_write_b64 v0, v[7:8] offset:18
	s_waitcnt lgkmcnt(0)
	s_barrier
	ds_read_u16 v34, v19
	ds_read_u16 v35, v18 offset:442
	ds_read_u16 v33, v18 offset:578
	;; [unrolled: 1-line block ×4, first 2 shown]
	ds_read_u16 v32, v3
	ds_read_u16 v46, v18 offset:1326
	ds_read_u16 v40, v18 offset:1156
	ds_read_u16 v42, v18 offset:884
	ds_read_u16 v37, v18 offset:714
	ds_read_u16 v38, v1
	ds_read_u16 v36, v18 offset:1598
                                        ; implicit-def: $vgpr41
                                        ; implicit-def: $vgpr43
                                        ; implicit-def: $vgpr26
	s_and_saveexec_b64 s[2:3], s[0:1]
	s_cbranch_execz .LBB0_16
; %bb.15:
	v_add3_u32 v0, 0, v4, v20
	ds_read_u16 v41, v18 offset:850
	ds_read_u16 v43, v18 offset:1292
	ds_read_u16 v25, v0
	ds_read_u16 v26, v18 offset:1734
.LBB0_16:
	s_or_b64 exec, exec, s[2:3]
	s_movk_i32 s6, 0x4f
	v_mul_lo_u16_sdwa v0, v16, s6 dst_sel:DWORD dst_unused:UNUSED_PAD src0_sel:BYTE_0 src1_sel:DWORD
	v_lshrrev_b16_e32 v55, 10, v0
	v_mul_lo_u16_e32 v0, 13, v55
	v_sub_u16_e32 v56, v16, v0
	v_mov_b32_e32 v7, 3
	v_mul_u32_u24_sdwa v0, v56, v7 dst_sel:DWORD dst_unused:UNUSED_PAD src0_sel:BYTE_0 src1_sel:DWORD
	v_lshlrev_b32_e32 v8, 2, v0
	v_mul_lo_u16_sdwa v0, v2, s6 dst_sel:DWORD dst_unused:UNUSED_PAD src0_sel:BYTE_0 src1_sel:DWORD
	v_lshrrev_b16_e32 v57, 10, v0
	v_mul_lo_u16_e32 v0, 13, v57
	v_sub_u16_e32 v58, v2, v0
	v_mul_u32_u24_sdwa v0, v58, v7 dst_sel:DWORD dst_unused:UNUSED_PAD src0_sel:BYTE_0 src1_sel:DWORD
	v_lshlrev_b32_e32 v9, 2, v0
	global_load_dwordx3 v[3:5], v8, s[12:13]
	global_load_dwordx3 v[0:2], v9, s[12:13]
	v_mul_lo_u16_sdwa v8, v6, s6 dst_sel:DWORD dst_unused:UNUSED_PAD src0_sel:BYTE_0 src1_sel:DWORD
	v_lshrrev_b16_e32 v59, 10, v8
	v_mul_lo_u16_e32 v8, 13, v59
	v_sub_u16_e32 v60, v6, v8
	s_movk_i32 s2, 0x4ec5
	v_mul_u32_u24_sdwa v6, v60, v7 dst_sel:DWORD dst_unused:UNUSED_PAD src0_sel:BYTE_0 src1_sel:DWORD
	v_mul_u32_u24_sdwa v7, v17, s2 dst_sel:DWORD dst_unused:UNUSED_PAD src0_sel:WORD_0 src1_sel:DWORD
	v_lshrrev_b32_e32 v9, 18, v7
	v_mul_lo_u16_e32 v9, 13, v9
	v_sub_u16_e32 v61, v17, v9
	v_mul_u32_u24_e32 v9, 3, v61
	v_lshlrev_b32_e32 v6, 2, v6
	v_lshlrev_b32_e32 v9, 2, v9
	global_load_dwordx3 v[6:8], v6, s[12:13]
	s_movk_i32 s7, 0x68
	global_load_dwordx3 v[9:11], v9, s[12:13]
	s_waitcnt vmcnt(0) lgkmcnt(0)
	s_barrier
	v_mul_f16_sdwa v51, v35, v3 dst_sel:DWORD dst_unused:UNUSED_PAD src0_sel:DWORD src1_sel:WORD_1
	v_mul_f16_sdwa v53, v49, v3 dst_sel:DWORD dst_unused:UNUSED_PAD src0_sel:DWORD src1_sel:WORD_1
	;; [unrolled: 1-line block ×10, first 2 shown]
	v_fma_f16 v80, v49, v3, v51
	v_fma_f16 v3, v35, v3, -v53
	v_fma_f16 v35, v23, v4, v62
	v_fma_f16 v49, v50, v5, v63
	;; [unrolled: 1-line block ×3, first 2 shown]
	v_mul_f16_sdwa v70, v37, v6 dst_sel:DWORD dst_unused:UNUSED_PAD src0_sel:DWORD src1_sel:WORD_1
	v_mul_f16_sdwa v71, v47, v6 dst_sel:DWORD dst_unused:UNUSED_PAD src0_sel:DWORD src1_sel:WORD_1
	;; [unrolled: 1-line block ×8, first 2 shown]
	v_fma_f16 v45, v33, v0, -v66
	v_fma_f16 v33, v22, v1, v67
	v_fma_f16 v50, v44, v2, v68
	v_mul_f16_sdwa v76, v52, v9 dst_sel:DWORD dst_unused:UNUSED_PAD src0_sel:DWORD src1_sel:WORD_1
	v_fma_f16 v5, v46, v5, -v64
	v_fma_f16 v2, v31, v2, -v69
	v_fma_f16 v62, v47, v6, v70
	v_fma_f16 v44, v37, v6, -v71
	v_fma_f16 v6, v21, v7, v72
	v_fma_f16 v31, v48, v8, v73
	v_fma_f16 v8, v36, v8, -v74
	v_fma_f16 v37, v52, v9, v75
	v_fma_f16 v52, v54, v11, v78
	v_fma_f16 v54, v26, v11, -v79
	v_sub_f16_e32 v26, v27, v35
	v_sub_f16_e32 v46, v80, v49
	;; [unrolled: 1-line block ×7, first 2 shown]
	v_fma_f16 v2, v27, 2.0, -v26
	v_fma_f16 v6, v80, 2.0, -v46
	;; [unrolled: 1-line block ×4, first 2 shown]
	v_mul_f16_sdwa v77, v43, v10 dst_sel:DWORD dst_unused:UNUSED_PAD src0_sel:DWORD src1_sel:WORD_1
	v_sub_f16_e32 v50, v62, v31
	v_sub_f16_e32 v11, v2, v6
	;; [unrolled: 1-line block ×3, first 2 shown]
	v_fma_f16 v0, v41, v9, -v76
	v_fma_f16 v41, v24, v10, v77
	v_fma_f16 v29, v29, 2.0, -v63
	v_fma_f16 v31, v8, 2.0, -v6
	;; [unrolled: 1-line block ×3, first 2 shown]
	v_sub_f16_e32 v35, v29, v8
	v_sub_f16_e32 v41, v28, v41
	v_sub_f16_e32 v52, v37, v52
	v_fma_f16 v8, v29, 2.0, -v35
	v_fma_f16 v28, v28, 2.0, -v41
	v_sub_f16_e32 v53, v0, v54
	v_fma_f16 v29, v37, 2.0, -v52
	v_sub_f16_e32 v29, v28, v29
	v_add_f16_e32 v30, v41, v53
	v_mov_b32_e32 v54, 1
	v_fma_f16 v37, v28, 2.0, -v29
	v_fma_f16 v28, v41, 2.0, -v30
	v_mad_u32_u24 v41, v55, s7, 0
	v_lshlrev_b32_sdwa v55, v54, v56 dst_sel:DWORD dst_unused:UNUSED_PAD src0_sel:DWORD src1_sel:BYTE_0
	v_sub_f16_e32 v47, v3, v5
	v_add3_u32 v55, v41, v55, v20
	v_mad_u32_u24 v41, v57, s7, 0
	v_lshlrev_b32_sdwa v56, v54, v58 dst_sel:DWORD dst_unused:UNUSED_PAD src0_sel:DWORD src1_sel:BYTE_0
	v_add_f16_e32 v9, v26, v47
	v_add_f16_e32 v5, v33, v49
	;; [unrolled: 1-line block ×3, first 2 shown]
	v_add3_u32 v56, v41, v56, v20
	v_mad_u32_u24 v41, v59, s7, 0
	v_lshlrev_b32_sdwa v54, v54, v60 dst_sel:DWORD dst_unused:UNUSED_PAD src0_sel:DWORD src1_sel:BYTE_0
	v_fma_f16 v27, v26, 2.0, -v9
	v_fma_f16 v26, v33, 2.0, -v5
	;; [unrolled: 1-line block ×4, first 2 shown]
	v_add3_u32 v57, v41, v54, v20
	v_lshlrev_b32_e32 v54, 1, v61
	ds_write_b16 v55, v2
	ds_write_b16 v55, v27 offset:26
	ds_write_b16 v55, v11 offset:52
	ds_write_b16 v55, v9 offset:78
	ds_write_b16 v56, v31
	ds_write_b16 v56, v26 offset:26
	ds_write_b16 v56, v6 offset:52
	ds_write_b16 v56, v5 offset:78
	ds_write_b16 v57, v8
	ds_write_b16 v57, v33 offset:26
	ds_write_b16 v57, v35 offset:52
	ds_write_b16 v57, v36 offset:78
	s_and_saveexec_b64 s[2:3], s[0:1]
	s_cbranch_execz .LBB0_18
; %bb.17:
	v_mul_lo_u16_sdwa v41, v17, s6 dst_sel:DWORD dst_unused:UNUSED_PAD src0_sel:BYTE_0 src1_sel:DWORD
	v_lshrrev_b16_e32 v41, 10, v41
	v_mad_u32_u24 v41, v41, s7, 0
	v_add3_u32 v41, v41, v54, v20
	ds_write_b16 v41, v37
	ds_write_b16 v41, v28 offset:26
	ds_write_b16 v41, v29 offset:52
	;; [unrolled: 1-line block ×3, first 2 shown]
.LBB0_18:
	s_or_b64 exec, exec, s[2:3]
	v_cmp_gt_u32_e64 s[2:3], 52, v16
	s_waitcnt lgkmcnt(0)
	s_barrier
	s_waitcnt lgkmcnt(0)
                                        ; implicit-def: $vgpr41
	s_and_saveexec_b64 s[6:7], s[2:3]
	s_cbranch_execz .LBB0_20
; %bb.19:
	ds_read_u16 v2, v19
	ds_read_u16 v27, v18 offset:104
	ds_read_u16 v11, v18 offset:208
	;; [unrolled: 1-line block ×16, first 2 shown]
.LBB0_20:
	s_or_b64 exec, exec, s[6:7]
	v_mul_f16_sdwa v23, v23, v4 dst_sel:DWORD dst_unused:UNUSED_PAD src0_sel:DWORD src1_sel:WORD_1
	v_fma_f16 v4, v42, v4, -v23
	v_mul_f16_sdwa v22, v22, v1 dst_sel:DWORD dst_unused:UNUSED_PAD src0_sel:DWORD src1_sel:WORD_1
	v_mul_f16_sdwa v21, v21, v7 dst_sel:DWORD dst_unused:UNUSED_PAD src0_sel:DWORD src1_sel:WORD_1
	v_fma_f16 v1, v39, v1, -v22
	v_fma_f16 v39, v40, v7, -v21
	v_mul_f16_sdwa v7, v24, v10 dst_sel:DWORD dst_unused:UNUSED_PAD src0_sel:DWORD src1_sel:WORD_1
	v_sub_f16_e32 v4, v34, v4
	v_fma_f16 v40, v43, v10, -v7
	v_fma_f16 v7, v34, 2.0, -v4
	v_fma_f16 v3, v3, 2.0, -v47
	v_sub_f16_e32 v21, v7, v3
	v_sub_f16_e32 v22, v4, v46
	;; [unrolled: 1-line block ×3, first 2 shown]
	v_fma_f16 v3, v7, 2.0, -v21
	v_fma_f16 v23, v4, 2.0, -v22
	;; [unrolled: 1-line block ×4, first 2 shown]
	v_sub_f16_e32 v7, v4, v7
	v_fma_f16 v24, v4, 2.0, -v7
	v_sub_f16_e32 v4, v1, v48
	v_fma_f16 v46, v1, 2.0, -v4
	;; [unrolled: 2-line block ×3, first 2 shown]
	v_fma_f16 v32, v44, 2.0, -v51
	v_sub_f16_e32 v44, v1, v50
	v_fma_f16 v47, v1, 2.0, -v44
	v_sub_f16_e32 v1, v25, v40
	v_fma_f16 v25, v25, 2.0, -v1
	v_fma_f16 v0, v0, 2.0, -v53
	v_sub_f16_e32 v34, v25, v0
	v_sub_f16_e32 v45, v10, v32
	v_fma_f16 v40, v25, 2.0, -v34
	v_sub_f16_e32 v25, v1, v52
	v_fma_f16 v10, v10, 2.0, -v45
	v_fma_f16 v32, v1, 2.0, -v25
	s_waitcnt lgkmcnt(0)
	s_barrier
	ds_write_b16 v55, v3
	ds_write_b16 v55, v23 offset:26
	ds_write_b16 v55, v21 offset:52
	ds_write_b16 v55, v22 offset:78
	ds_write_b16 v56, v24
	ds_write_b16 v56, v46 offset:26
	ds_write_b16 v56, v7 offset:52
	ds_write_b16 v56, v4 offset:78
	;; [unrolled: 4-line block ×3, first 2 shown]
	s_and_saveexec_b64 s[6:7], s[0:1]
	s_cbranch_execz .LBB0_22
; %bb.21:
	s_movk_i32 s0, 0x4f
	v_mul_lo_u16_sdwa v0, v17, s0 dst_sel:DWORD dst_unused:UNUSED_PAD src0_sel:BYTE_0 src1_sel:DWORD
	v_lshrrev_b16_e32 v0, 10, v0
	s_movk_i32 s0, 0x68
	v_mad_u32_u24 v0, v0, s0, 0
	v_add3_u32 v0, v0, v54, v20
	ds_write_b16 v0, v40
	ds_write_b16 v0, v32 offset:26
	ds_write_b16 v0, v34 offset:52
	;; [unrolled: 1-line block ×3, first 2 shown]
.LBB0_22:
	s_or_b64 exec, exec, s[6:7]
	s_waitcnt lgkmcnt(0)
	s_barrier
	s_waitcnt lgkmcnt(0)
                                        ; implicit-def: $vgpr17
	s_and_saveexec_b64 s[0:1], s[2:3]
	s_cbranch_execz .LBB0_24
; %bb.23:
	ds_read_u16 v3, v19
	ds_read_u16 v23, v18 offset:104
	ds_read_u16 v21, v18 offset:208
	;; [unrolled: 1-line block ×16, first 2 shown]
.LBB0_24:
	s_or_b64 exec, exec, s[0:1]
	v_cmp_gt_u32_e64 s[0:1], 52, v16
	s_and_b64 s[0:1], vcc, s[0:1]
	s_and_saveexec_b64 s[6:7], s[0:1]
	s_cbranch_execz .LBB0_26
; %bb.25:
	v_lshlrev_b32_e32 v0, 4, v16
	v_add_u32_e32 v1, 0xfffffcc0, v0
	v_cndmask_b32_e64 v0, v1, v0, s[2:3]
	v_mov_b32_e32 v1, 0
	v_lshlrev_b64 v[0:1], 2, v[0:1]
	v_mov_b32_e32 v18, s13
	v_add_co_u32_e32 v0, vcc, s12, v0
	v_addc_co_u32_e32 v1, vcc, v18, v1, vcc
	global_load_dwordx4 v[48:51], v[0:1], off offset:156
	global_load_dwordx4 v[52:55], v[0:1], off offset:204
	;; [unrolled: 1-line block ×4, first 2 shown]
	v_mul_lo_u32 v18, s5, v14
	v_mul_lo_u32 v15, s4, v15
	v_mad_u64_u32 v[0:1], s[0:1], s4, v14, 0
	s_movk_i32 s3, 0x39e9
	s_movk_i32 s2, 0x2de8
	v_add3_u32 v1, v1, v15, v18
	s_mov_b32 s1, 0xb8d2
	s_mov_b32 s0, 0xbbdd
	;; [unrolled: 1-line block ×4, first 2 shown]
	s_movk_i32 s6, 0x3722
	s_movk_i32 s7, 0x3b76
	;; [unrolled: 1-line block ×4, first 2 shown]
	v_lshlrev_b64 v[0:1], 2, v[0:1]
	s_waitcnt vmcnt(3) lgkmcnt(14)
	v_mul_f16_sdwa v38, v23, v48 dst_sel:DWORD dst_unused:UNUSED_PAD src0_sel:DWORD src1_sel:WORD_1
	s_waitcnt vmcnt(2) lgkmcnt(0)
	v_mul_f16_sdwa v14, v17, v55 dst_sel:DWORD dst_unused:UNUSED_PAD src0_sel:DWORD src1_sel:WORD_1
	v_mul_f16_sdwa v15, v41, v55 dst_sel:DWORD dst_unused:UNUSED_PAD src0_sel:DWORD src1_sel:WORD_1
	;; [unrolled: 1-line block ×6, first 2 shown]
	v_fma_f16 v19, v41, v55, v14
	v_fma_f16 v38, v27, v48, v38
	v_mul_f16_sdwa v43, v30, v54 dst_sel:DWORD dst_unused:UNUSED_PAD src0_sel:DWORD src1_sel:WORD_1
	v_mul_f16_sdwa v64, v11, v49 dst_sel:DWORD dst_unused:UNUSED_PAD src0_sel:DWORD src1_sel:WORD_1
	;; [unrolled: 1-line block ×7, first 2 shown]
	v_fma_f16 v14, v17, v55, -v15
	v_fma_f16 v20, v30, v54, v18
	v_fma_f16 v30, v28, v52, v67
	v_fma_f16 v28, v23, v48, -v39
	v_fma_f16 v39, v11, v49, v42
	v_sub_f16_e32 v27, v38, v19
	v_mul_f16_sdwa v70, v9, v50 dst_sel:DWORD dst_unused:UNUSED_PAD src0_sel:DWORD src1_sel:WORD_1
	v_mul_f16_sdwa v71, v24, v51 dst_sel:DWORD dst_unused:UNUSED_PAD src0_sel:DWORD src1_sel:WORD_1
	v_fma_f16 v15, v25, v54, -v43
	v_fma_f16 v25, v29, v53, v65
	v_fma_f16 v17, v34, v53, -v66
	v_fma_f16 v29, v21, v49, -v64
	v_fma_f16 v41, v9, v50, v69
	v_fma_f16 v34, v24, v51, -v72
	v_add_f16_e32 v69, v28, v14
	v_sub_f16_e32 v24, v39, v20
	v_mul_f16_e32 v86, 0xb964, v27
	s_waitcnt vmcnt(1)
	v_mul_f16_sdwa v73, v46, v56 dst_sel:DWORD dst_unused:UNUSED_PAD src0_sel:DWORD src1_sel:WORD_1
	s_waitcnt vmcnt(0)
	v_mul_f16_sdwa v74, v40, v63 dst_sel:DWORD dst_unused:UNUSED_PAD src0_sel:DWORD src1_sel:WORD_1
	v_fma_f16 v18, v32, v52, -v68
	v_fma_f16 v32, v22, v50, -v70
	v_fma_f16 v42, v31, v51, v71
	v_add_f16_e32 v68, v29, v15
	v_sub_f16_e32 v23, v41, v25
	v_mul_f16_e32 v85, 0xbbf7, v24
	v_fma_f16 v9, v69, s3, v86
	v_mul_f16_sdwa v75, v37, v63 dst_sel:DWORD dst_unused:UNUSED_PAD src0_sel:DWORD src1_sel:WORD_1
	v_mul_f16_sdwa v77, v36, v62 dst_sel:DWORD dst_unused:UNUSED_PAD src0_sel:DWORD src1_sel:WORD_1
	;; [unrolled: 1-line block ×6, first 2 shown]
	v_fma_f16 v43, v26, v56, v73
	v_fma_f16 v37, v37, v63, v74
	v_add_f16_e32 v67, v32, v17
	v_sub_f16_e32 v22, v42, v30
	v_mul_f16_e32 v83, 0xba62, v23
	v_fma_f16 v11, v68, s2, v85
	v_add_f16_e32 v9, v3, v9
	v_mul_f16_sdwa v76, v44, v62 dst_sel:DWORD dst_unused:UNUSED_PAD src0_sel:DWORD src1_sel:WORD_1
	v_mul_f16_sdwa v81, v33, v60 dst_sel:DWORD dst_unused:UNUSED_PAD src0_sel:DWORD src1_sel:WORD_1
	v_fma_f16 v26, v40, v63, -v75
	v_fma_f16 v31, v44, v62, -v77
	v_fma_f16 v44, v35, v61, v78
	v_fma_f16 v35, v45, v61, -v79
	v_fma_f16 v45, v33, v60, v80
	v_add_f16_e32 v66, v34, v18
	v_sub_f16_e32 v21, v43, v37
	v_mul_f16_e32 v82, 0xb1e1, v22
	v_fma_f16 v33, v67, s1, v83
	v_add_f16_e32 v9, v9, v11
	v_fma_f16 v50, v46, v56, -v84
	v_fma_f16 v40, v36, v62, v76
	v_fma_f16 v36, v47, v60, -v81
	v_mul_f16_e32 v80, 0x3836, v21
	v_fma_f16 v47, v66, s0, v82
	v_add_f16_e32 v9, v9, v33
	v_add_f16_e32 v70, v50, v26
	;; [unrolled: 1-line block ×3, first 2 shown]
	v_fma_f16 v11, v70, s4, v80
	v_add_f16_e32 v9, v9, v11
	v_mul_f16_sdwa v11, v7, v57 dst_sel:DWORD dst_unused:UNUSED_PAD src0_sel:DWORD src1_sel:WORD_1
	v_fma_f16 v62, v6, v57, v11
	v_mul_f16_sdwa v6, v6, v57 dst_sel:DWORD dst_unused:UNUSED_PAD src0_sel:DWORD src1_sel:WORD_1
	v_fma_f16 v54, v7, v57, -v6
	v_mul_f16_sdwa v6, v4, v58 dst_sel:DWORD dst_unused:UNUSED_PAD src0_sel:DWORD src1_sel:WORD_1
	v_fma_f16 v63, v5, v58, v6
	v_mul_f16_sdwa v5, v5, v58 dst_sel:DWORD dst_unused:UNUSED_PAD src0_sel:DWORD src1_sel:WORD_1
	v_fma_f16 v57, v4, v58, -v5
	v_mul_f16_sdwa v4, v10, v59 dst_sel:DWORD dst_unused:UNUSED_PAD src0_sel:DWORD src1_sel:WORD_1
	v_sub_f16_e32 v46, v62, v40
	v_fma_f16 v64, v8, v59, v4
	v_mul_f16_sdwa v4, v8, v59 dst_sel:DWORD dst_unused:UNUSED_PAD src0_sel:DWORD src1_sel:WORD_1
	v_mul_f16_e32 v89, 0x3bb2, v46
	v_add_f16_e32 v72, v54, v31
	v_sub_f16_e32 v47, v63, v44
	v_fma_f16 v61, v10, v59, -v4
	v_fma_f16 v4, v72, s5, v89
	v_mul_f16_e32 v90, 0x3b29, v47
	v_add_f16_e32 v73, v57, v35
	v_sub_f16_e32 v49, v64, v45
	v_add_f16_e32 v4, v9, v4
	v_fma_f16 v5, v73, s6, v90
	v_mul_f16_e32 v92, 0x35c8, v49
	v_add_f16_e32 v74, v61, v36
	v_sub_f16_e32 v75, v28, v14
	v_add_f16_e32 v4, v4, v5
	v_fma_f16 v5, v74, s7, v92
	v_add_f16_e32 v51, v38, v19
	v_mul_f16_e32 v93, 0xb964, v75
	v_sub_f16_e32 v76, v29, v15
	v_add_f16_e32 v4, v4, v5
	v_fma_f16 v5, v51, s3, -v93
	v_add_f16_e32 v52, v39, v20
	v_mul_f16_e32 v94, 0xbbf7, v76
	v_sub_f16_e32 v77, v32, v17
	v_add_f16_e32 v5, v2, v5
	v_fma_f16 v6, v52, s2, -v94
	v_add_f16_e32 v53, v41, v25
	v_mul_f16_e32 v95, 0xba62, v77
	v_sub_f16_e32 v78, v34, v18
	v_add_f16_e32 v5, v5, v6
	v_fma_f16 v6, v53, s1, -v95
	v_add_f16_e32 v56, v42, v30
	v_mul_f16_e32 v96, 0xb1e1, v78
	v_sub_f16_e32 v79, v50, v26
	v_add_f16_e32 v5, v5, v6
	v_fma_f16 v6, v56, s0, -v96
	v_add_f16_e32 v59, v43, v37
	v_mul_f16_e32 v97, 0x3836, v79
	v_sub_f16_e32 v81, v54, v31
	v_add_f16_e32 v5, v5, v6
	v_fma_f16 v6, v59, s4, -v97
	v_add_f16_e32 v55, v62, v40
	v_mul_f16_e32 v98, 0x3bb2, v81
	v_sub_f16_e32 v84, v57, v35
	v_add_f16_e32 v5, v5, v6
	v_fma_f16 v6, v55, s5, -v98
	v_add_f16_e32 v58, v63, v44
	v_mul_f16_e32 v99, 0x3b29, v84
	v_sub_f16_e32 v87, v61, v36
	v_add_f16_e32 v5, v5, v6
	v_fma_f16 v6, v58, s6, -v99
	v_add_f16_e32 v60, v64, v45
	v_mul_f16_e32 v100, 0x35c8, v87
	v_add_f16_e32 v5, v5, v6
	v_fma_f16 v6, v60, s7, -v100
	v_mul_f16_e32 v101, 0xbb29, v27
	v_add_f16_e32 v5, v5, v6
	v_fma_f16 v6, v69, s6, v101
	v_mul_f16_e32 v102, 0xba62, v24
	v_add_f16_e32 v6, v3, v6
	v_fma_f16 v7, v68, s1, v102
	v_mul_f16_e32 v103, 0x31e1, v23
	v_add_f16_e32 v6, v6, v7
	v_fma_f16 v7, v67, s0, v103
	v_mul_f16_e32 v104, 0x3bb2, v22
	v_add_f16_e32 v6, v6, v7
	v_fma_f16 v7, v66, s5, v104
	v_mul_f16_e32 v105, 0x3964, v21
	v_add_f16_e32 v6, v6, v7
	v_fma_f16 v7, v70, s3, v105
	v_mul_f16_e32 v106, 0xb5c8, v46
	v_add_f16_e32 v6, v6, v7
	v_fma_f16 v7, v72, s7, v106
	v_mul_f16_e32 v107, 0xbbf7, v47
	v_add_f16_e32 v6, v6, v7
	v_fma_f16 v7, v73, s2, v107
	v_mul_f16_e32 v108, 0xb836, v49
	v_add_f16_e32 v6, v6, v7
	v_fma_f16 v7, v74, s4, v108
	v_mul_f16_e32 v109, 0xbb29, v75
	v_add_f16_e32 v6, v6, v7
	v_fma_f16 v7, v51, s6, -v109
	v_mul_f16_e32 v110, 0xba62, v76
	v_add_f16_e32 v7, v2, v7
	v_fma_f16 v8, v52, s1, -v110
	v_mul_f16_e32 v111, 0x31e1, v77
	v_add_f16_e32 v7, v7, v8
	v_fma_f16 v8, v53, s0, -v111
	v_mul_f16_e32 v112, 0x3bb2, v78
	v_add_f16_e32 v7, v7, v8
	v_fma_f16 v8, v56, s5, -v112
	v_mul_f16_e32 v113, 0x3964, v79
	v_add_f16_e32 v7, v7, v8
	v_fma_f16 v8, v59, s3, -v113
	v_mul_f16_e32 v114, 0xb5c8, v81
	v_add_f16_e32 v7, v7, v8
	v_fma_f16 v8, v55, s7, -v114
	v_mul_f16_e32 v115, 0xbbf7, v84
	v_add_f16_e32 v7, v7, v8
	v_fma_f16 v8, v58, s2, -v115
	v_mul_f16_e32 v116, 0xb836, v87
	v_add_f16_e32 v7, v7, v8
	v_fma_f16 v8, v60, s4, -v116
	v_mul_f16_e32 v117, 0xbbf7, v27
	v_add_f16_e32 v7, v7, v8
	v_fma_f16 v8, v69, s2, v117
	v_mul_f16_e32 v118, 0xb1e1, v24
	v_add_f16_e32 v8, v3, v8
	v_fma_f16 v9, v68, s0, v118
	v_mul_f16_e32 v119, 0x3bb2, v23
	v_add_f16_e32 v8, v8, v9
	v_fma_f16 v9, v67, s5, v119
	v_mul_f16_e32 v120, 0x35c8, v22
	v_add_f16_e32 v8, v8, v9
	v_fma_f16 v9, v66, s7, v120
	v_mul_f16_e32 v121, 0xbb29, v21
	v_add_f16_e32 v8, v8, v9
	v_fma_f16 v9, v70, s6, v121
	v_mul_f16_e32 v122, 0xb836, v46
	v_add_f16_e32 v8, v8, v9
	v_fma_f16 v9, v72, s4, v122
	v_mul_f16_e32 v123, 0x3a62, v47
	v_add_f16_e32 v8, v8, v9
	v_fma_f16 v9, v73, s1, v123
	v_mul_f16_e32 v124, 0x3964, v49
	v_add_f16_e32 v8, v8, v9
	v_fma_f16 v9, v74, s3, v124
	v_mul_f16_e32 v125, 0xbbf7, v75
	v_add_f16_e32 v8, v8, v9
	v_fma_f16 v9, v51, s2, -v125
	v_mul_f16_e32 v126, 0xb1e1, v76
	v_add_f16_e32 v9, v2, v9
	v_fma_f16 v10, v52, s0, -v126
	v_mul_f16_e32 v127, 0x3bb2, v77
	v_add_f16_e32 v9, v9, v10
	v_fma_f16 v10, v53, s5, -v127
	v_mul_f16_e32 v128, 0x35c8, v78
	v_add_f16_e32 v9, v9, v10
	v_fma_f16 v10, v56, s7, -v128
	v_mul_f16_e32 v129, 0xbb29, v79
	v_add_f16_e32 v9, v9, v10
	v_fma_f16 v10, v59, s6, -v129
	v_mul_f16_e32 v130, 0xb836, v81
	v_add_f16_e32 v9, v9, v10
	v_fma_f16 v10, v55, s4, -v130
	v_mul_f16_e32 v131, 0x3a62, v84
	v_add_f16_e32 v9, v9, v10
	v_fma_f16 v10, v58, s1, -v131
	;; [unrolled: 48-line block ×3, first 2 shown]
	v_mul_f16_e32 v148, 0xba62, v87
	v_add_f16_e32 v11, v11, v33
	v_fma_f16 v33, v60, s1, -v148
	v_mul_f16_e32 v149, 0xba62, v27
	v_add_f16_e32 v11, v11, v33
	v_fma_f16 v33, v69, s1, v149
	v_mul_f16_e32 v150, 0x3bb2, v24
	v_add_f16_e32 v33, v3, v33
	v_fma_f16 v48, v68, s5, v150
	v_mul_f16_e32 v151, 0xb5c8, v23
	v_add_f16_e32 v33, v33, v48
	v_fma_f16 v48, v67, s7, v151
	v_mul_f16_e32 v152, 0xb836, v22
	v_add_f16_e32 v33, v33, v48
	v_fma_f16 v48, v66, s4, v152
	v_mul_f16_e32 v153, 0x3bf7, v21
	v_add_f16_e32 v33, v33, v48
	v_fma_f16 v48, v70, s2, v153
	v_mul_f16_e32 v154, 0xb964, v46
	v_add_f16_e32 v33, v33, v48
	v_fma_f16 v48, v72, s3, v154
	v_mul_f16_e32 v155, 0xb1e1, v47
	v_add_f16_e32 v33, v33, v48
	v_fma_f16 v48, v73, s0, v155
	v_mul_f16_e32 v156, 0x3b29, v49
	v_add_f16_e32 v33, v33, v48
	v_fma_f16 v48, v74, s6, v156
	v_mul_f16_e32 v157, 0xba62, v75
	v_add_f16_e32 v33, v33, v48
	v_fma_f16 v48, v51, s1, -v157
	v_mul_f16_e32 v158, 0x3bb2, v76
	v_add_f16_e32 v48, v2, v48
	v_fma_f16 v65, v52, s5, -v158
	;; [unrolled: 3-line block ×4, first 2 shown]
	v_mul_f16_e32 v161, 0x3bf7, v79
	v_add_f16_e32 v38, v2, v38
	v_add_f16_e32 v48, v48, v65
	v_fma_f16 v65, v59, s2, -v161
	v_mul_f16_e32 v162, 0xb964, v81
	v_add_f16_e32 v38, v38, v39
	v_add_f16_e32 v48, v48, v65
	v_fma_f16 v65, v55, s3, -v162
	;; [unrolled: 4-line block ×4, first 2 shown]
	v_mul_f16_e32 v165, 0xb836, v27
	v_add_f16_e32 v38, v38, v43
	v_add_f16_e32 v48, v48, v65
	v_fma_f16 v65, v69, s4, v165
	v_mul_f16_e32 v166, 0x3b29, v24
	v_add_f16_e32 v38, v38, v62
	v_add_f16_e32 v65, v3, v65
	v_fma_f16 v71, v68, s6, v166
	v_mul_f16_e32 v167, 0xbbf7, v23
	v_fma_f16 v86, v69, s3, -v86
	v_add_f16_e32 v38, v38, v63
	v_add_f16_e32 v65, v65, v71
	v_fma_f16 v71, v67, s2, v167
	v_mul_f16_e32 v168, 0x3a62, v22
	v_add_f16_e32 v86, v3, v86
	v_fma_f16 v85, v68, s2, -v85
	v_add_f16_e32 v38, v38, v64
	v_add_f16_e32 v65, v65, v71
	v_fma_f16 v71, v66, s1, v168
	v_mul_f16_e32 v169, 0xb5c8, v21
	v_add_f16_e32 v85, v86, v85
	;; [unrolled: 6-line block ×6, first 2 shown]
	v_fma_f16 v82, v73, s6, -v90
	v_add_f16_e32 v30, v30, v37
	v_add_f16_e32 v65, v65, v71
	v_fma_f16 v71, v51, s4, -v173
	v_mul_f16_e32 v174, 0x3b29, v76
	v_add_f16_e32 v80, v80, v82
	v_fma_f16 v82, v74, s7, -v92
	v_add_f16_e32 v25, v25, v30
	v_add_f16_e32 v71, v2, v71
	v_fma_f16 v88, v52, s6, -v174
	v_mul_f16_e32 v175, 0xbbf7, v77
	v_add_f16_e32 v80, v80, v82
	v_fma_f16 v82, v51, s3, v93
	v_add_f16_e32 v20, v20, v25
	v_add_f16_e32 v71, v71, v88
	v_fma_f16 v88, v53, s2, -v175
	v_mul_f16_e32 v176, 0x3a62, v78
	v_add_f16_e32 v82, v2, v82
	v_fma_f16 v83, v52, s2, v94
	v_add_f16_e32 v19, v19, v20
	v_add_f16_e32 v20, v3, v28
	;; [unrolled: 1-line block ×3, first 2 shown]
	v_fma_f16 v88, v56, s1, -v176
	v_mul_f16_e32 v177, 0xb5c8, v79
	v_add_f16_e32 v82, v82, v83
	v_fma_f16 v83, v53, s1, v95
	v_add_f16_e32 v20, v20, v29
	v_add_f16_e32 v71, v71, v88
	v_fma_f16 v88, v59, s7, -v177
	v_mul_f16_e32 v178, 0xb1e1, v81
	v_add_f16_e32 v82, v82, v83
	v_fma_f16 v83, v56, s0, v96
	v_add_f16_e32 v20, v20, v32
	v_add_f16_e32 v71, v71, v88
	;; [unrolled: 6-line block ×5, first 2 shown]
	v_fma_f16 v88, v69, s0, v181
	v_mul_f16_e32 v182, 0x35c8, v24
	v_fma_f16 v181, v69, s0, -v181
	v_fma_f16 v165, v69, s4, -v165
	;; [unrolled: 1-line block ×6, first 2 shown]
	v_add_f16_e32 v82, v82, v83
	v_fma_f16 v83, v60, s7, v100
	v_mul_f16_e32 v69, 0x3b76, v69
	v_add_f16_e32 v20, v20, v57
	v_add_f16_e32 v88, v3, v88
	v_fma_f16 v91, v68, s7, v182
	v_mul_f16_e32 v183, 0xb836, v23
	v_add_f16_e32 v181, v3, v181
	v_fma_f16 v182, v68, s7, -v182
	v_add_f16_e32 v165, v3, v165
	v_fma_f16 v166, v68, s6, -v166
	;; [unrolled: 2-line block ×6, first 2 shown]
	v_add_f16_e32 v82, v82, v83
	v_fma_f16 v83, v27, s8, v69
	v_mul_f16_e32 v68, 0x39e9, v68
	v_add_f16_e32 v20, v20, v61
	v_add_f16_e32 v88, v88, v91
	v_fma_f16 v91, v67, s4, v183
	v_mul_f16_e32 v184, 0x3964, v22
	v_add_f16_e32 v181, v181, v182
	v_fma_f16 v182, v67, s4, -v183
	v_add_f16_e32 v165, v165, v166
	v_fma_f16 v166, v67, s2, -v167
	v_add_f16_e32 v149, v149, v150
	v_fma_f16 v150, v67, s7, -v151
	v_add_f16_e32 v133, v133, v134
	v_fma_f16 v134, v67, s3, -v135
	v_add_f16_e32 v117, v117, v118
	v_fma_f16 v118, v67, s5, -v119
	v_add_f16_e32 v101, v101, v102
	v_fma_f16 v102, v67, s0, -v103
	v_add_f16_e32 v83, v3, v83
	v_fma_f16 v85, v24, s9, v68
	s_movk_i32 s8, 0x3b29
	v_mul_f16_e32 v67, 0x3722, v67
	v_add_f16_e32 v20, v20, v36
	v_add_f16_e32 v88, v88, v91
	v_fma_f16 v91, v66, s3, v184
	v_mul_f16_e32 v185, 0xba62, v21
	v_add_f16_e32 v181, v181, v182
	v_fma_f16 v182, v66, s3, -v184
	v_add_f16_e32 v165, v165, v166
	v_fma_f16 v166, v66, s1, -v168
	v_add_f16_e32 v149, v149, v150
	v_fma_f16 v150, v66, s4, -v152
	v_add_f16_e32 v133, v133, v134
	v_fma_f16 v134, v66, s6, -v136
	v_add_f16_e32 v117, v117, v118
	v_fma_f16 v118, v66, s7, -v120
	v_add_f16_e32 v101, v101, v102
	v_fma_f16 v102, v66, s5, -v104
	v_add_f16_e32 v83, v83, v85
	v_fma_f16 v85, v23, s8, v67
	s_movk_i32 s8, 0x3bf7
	;; [unrolled: 20-line block ×5, first 2 shown]
	v_mul_f16_e32 v73, 0xbacd, v73
	v_add_f16_e32 v18, v18, v20
	v_add_f16_e32 v88, v88, v91
	v_fma_f16 v91, v74, s2, v188
	v_add_f16_e32 v181, v181, v182
	v_fma_f16 v182, v74, s2, -v188
	v_add_f16_e32 v165, v165, v166
	v_fma_f16 v166, v74, s5, -v172
	;; [unrolled: 2-line block ×6, first 2 shown]
	v_add_f16_e32 v83, v83, v85
	v_fma_f16 v85, v47, s8, v73
	s_movk_i32 s8, 0x31e1
	v_mul_f16_e32 v74, 0xbbdd, v74
	v_add_f16_e32 v17, v17, v18
	v_mul_f16_e32 v189, 0xb1e1, v75
	v_add_f16_e32 v83, v83, v85
	v_fma_f16 v85, v49, s8, v74
	v_add_f16_e32 v15, v15, v17
	s_mov_b32 s8, 0xb5c8
	v_add_f16_e32 v88, v88, v91
	v_fma_f16 v91, v51, s0, -v189
	v_mul_f16_e32 v190, 0x35c8, v76
	v_add_f16_e32 v17, v14, v15
	v_fma_f16 v14, v27, s8, v69
	s_mov_b32 s8, 0xb964
	v_add_f16_e32 v91, v2, v91
	v_fma_f16 v191, v52, s7, -v190
	v_add_f16_e32 v3, v3, v14
	v_fma_f16 v14, v24, s8, v68
	s_mov_b32 s8, 0xbb29
	v_add_f16_e32 v91, v91, v191
	v_mul_f16_e32 v191, 0xb836, v77
	v_add_f16_e32 v3, v3, v14
	v_fma_f16 v14, v23, s8, v67
	s_mov_b32 s8, 0xbbf7
	v_fma_f16 v192, v53, s4, -v191
	v_add_f16_e32 v3, v3, v14
	v_fma_f16 v14, v22, s8, v66
	s_mov_b32 s8, 0xbbb2
	v_add_f16_e32 v91, v91, v192
	v_mul_f16_e32 v192, 0x3964, v78
	v_add_f16_e32 v3, v3, v14
	v_fma_f16 v14, v21, s8, v70
	s_mov_b32 s8, 0xba62
	v_fma_f16 v193, v56, s3, -v192
	v_add_f16_e32 v3, v3, v14
	v_fma_f16 v14, v46, s8, v72
	s_mov_b32 s9, 0xb836
	v_add_f16_e32 v91, v91, v193
	v_mul_f16_e32 v193, 0xba62, v79
	v_add_f16_e32 v181, v181, v182
	v_fma_f16 v182, v51, s0, v189
	v_add_f16_e32 v117, v117, v118
	v_fma_f16 v118, v51, s2, v125
	s_mov_b32 s8, 0xb1e1
	v_add_f16_e32 v3, v3, v14
	v_fma_f16 v14, v47, s9, v73
	v_fma_f16 v194, v59, s1, -v193
	v_add_f16_e32 v182, v2, v182
	v_fma_f16 v183, v52, s7, v190
	v_add_f16_e32 v165, v165, v166
	v_fma_f16 v166, v51, s4, v173
	;; [unrolled: 2-line block ×4, first 2 shown]
	v_mul_f16_e32 v75, 0xb5c8, v75
	v_add_f16_e32 v3, v3, v14
	v_fma_f16 v14, v49, s8, v74
	v_add_f16_e32 v91, v91, v194
	v_mul_f16_e32 v194, 0x3b29, v81
	v_add_f16_e32 v182, v182, v183
	v_fma_f16 v183, v53, s4, v191
	v_add_f16_e32 v166, v2, v166
	v_fma_f16 v167, v52, s6, v174
	;; [unrolled: 2-line block ×7, first 2 shown]
	v_mul_f16_e32 v76, 0xb964, v76
	v_add_f16_e32 v18, v3, v14
	v_fma_f16 v3, v51, s7, -v75
	v_fma_f16 v195, v55, s6, -v194
	v_add_f16_e32 v182, v182, v183
	v_fma_f16 v183, v56, s3, v192
	v_add_f16_e32 v166, v166, v167
	v_fma_f16 v167, v53, s2, v175
	;; [unrolled: 2-line block ×6, first 2 shown]
	v_add_f16_e32 v85, v2, v85
	v_mul_f16_e32 v77, 0xbb29, v77
	v_add_f16_e32 v2, v2, v3
	v_fma_f16 v3, v52, s3, -v76
	v_add_f16_e32 v91, v91, v195
	v_mul_f16_e32 v195, 0xbbb2, v84
	v_add_f16_e32 v182, v182, v183
	v_fma_f16 v183, v59, s1, v193
	v_add_f16_e32 v166, v166, v167
	v_fma_f16 v167, v56, s1, v176
	;; [unrolled: 2-line block ×6, first 2 shown]
	v_mul_f16_e32 v78, 0xbbf7, v78
	v_add_f16_e32 v2, v2, v3
	v_fma_f16 v3, v53, s6, -v77
	v_fma_f16 v196, v58, s5, -v195
	v_add_f16_e32 v182, v182, v183
	v_fma_f16 v183, v55, s6, v194
	v_add_f16_e32 v166, v166, v167
	v_fma_f16 v167, v59, s7, v177
	;; [unrolled: 2-line block ×6, first 2 shown]
	v_fma_f16 v86, v52, s3, v76
	v_mul_f16_e32 v79, 0xbbb2, v79
	v_add_f16_e32 v2, v2, v3
	v_fma_f16 v3, v56, s2, -v78
	v_add_f16_e32 v91, v91, v196
	v_mul_f16_e32 v196, 0x3bf7, v87
	v_add_f16_e32 v182, v182, v183
	v_fma_f16 v183, v58, s5, v195
	v_add_f16_e32 v166, v166, v167
	v_fma_f16 v167, v55, s0, v178
	;; [unrolled: 2-line block ×7, first 2 shown]
	v_add_f16_e32 v2, v2, v3
	v_fma_f16 v3, v59, s5, -v79
	v_fma_f16 v197, v60, s2, -v196
	v_add_f16_e32 v182, v182, v183
	v_fma_f16 v183, v60, s2, v196
	v_add_f16_e32 v166, v166, v167
	v_fma_f16 v167, v58, s3, v179
	;; [unrolled: 2-line block ×7, first 2 shown]
	v_add_f16_e32 v14, v2, v3
	v_mad_u64_u32 v[2:3], s[2:3], s20, v16, 0
	v_mul_f16_e32 v81, 0xba62, v81
	v_add_f16_e32 v85, v85, v86
	v_fma_f16 v86, v59, s5, v79
	v_fma_f16 v15, v55, s1, -v81
	v_add_f16_e32 v85, v85, v86
	v_fma_f16 v86, v55, s1, v81
	v_mul_f16_e32 v84, 0xb836, v84
	v_add_f16_e32 v20, v14, v15
	v_mad_u64_u32 v[14:15], s[2:3], s21, v16, v[3:4]
	v_add_f16_e32 v85, v85, v86
	v_fma_f16 v86, v58, s4, v84
	v_add_f16_e32 v85, v85, v86
	v_mul_f16_e32 v86, 0xb1e1, v87
	v_fma_f16 v21, v58, s4, -v84
	v_add_f16_e32 v3, v20, v21
	v_fma_f16 v15, v60, s0, -v86
	v_add_f16_e32 v15, v3, v15
	v_mov_b32_e32 v3, v14
	v_mov_b32_e32 v14, s11
	v_add_co_u32_e32 v20, vcc, s10, v0
	v_addc_co_u32_e32 v14, vcc, v14, v1, vcc
	v_lshlrev_b64 v[0:1], 2, v[12:13]
	v_add_f16_e32 v134, v134, v135
	v_fma_f16 v135, v58, s7, v147
	v_add_co_u32_e32 v20, vcc, v20, v0
	v_add_u32_e32 v12, 52, v16
	v_add_f16_e32 v150, v150, v151
	v_fma_f16 v151, v58, s0, v163
	v_add_f16_e32 v134, v134, v135
	v_fma_f16 v135, v60, s1, v148
	v_fma_f16 v87, v60, s0, v86
	v_addc_co_u32_e32 v21, vcc, v14, v1, vcc
	v_lshlrev_b64 v[0:1], 2, v[2:3]
	v_mad_u64_u32 v[2:3], s[0:1], s20, v12, 0
	v_pack_b32_f16 v17, v19, v17
	v_add_u32_e32 v19, 0x68, v16
	v_mad_u64_u32 v[12:13], s[0:1], s21, v12, v[3:4]
	v_mad_u64_u32 v[13:14], s[0:1], s20, v19, 0
	v_add_co_u32_e32 v0, vcc, v20, v0
	v_addc_co_u32_e32 v1, vcc, v21, v1, vcc
	v_mov_b32_e32 v3, v12
	global_store_dword v[0:1], v17, off
	v_lshlrev_b64 v[0:1], 2, v[2:3]
	v_mov_b32_e32 v2, v14
	v_mad_u64_u32 v[2:3], s[0:1], s21, v19, v[2:3]
	v_add_f16_e32 v85, v85, v87
	v_add_co_u32_e32 v0, vcc, v20, v0
	v_addc_co_u32_e32 v1, vcc, v21, v1, vcc
	v_pack_b32_f16 v3, v85, v83
	v_add_u32_e32 v12, 0x9c, v16
	global_store_dword v[0:1], v3, off
	v_mov_b32_e32 v14, v2
	v_mad_u64_u32 v[2:3], s[0:1], s20, v12, 0
	v_lshlrev_b64 v[0:1], 2, v[13:14]
	v_add_u32_e32 v19, 0xd0, v16
	v_mad_u64_u32 v[12:13], s[0:1], s21, v12, v[3:4]
	v_mad_u64_u32 v[13:14], s[0:1], s20, v19, 0
	v_add_co_u32_e32 v0, vcc, v20, v0
	v_addc_co_u32_e32 v1, vcc, v21, v1, vcc
	v_pack_b32_f16 v17, v82, v80
	v_mov_b32_e32 v3, v12
	global_store_dword v[0:1], v17, off
	v_lshlrev_b64 v[0:1], 2, v[2:3]
	v_mov_b32_e32 v2, v14
	v_mad_u64_u32 v[2:3], s[0:1], s21, v19, v[2:3]
	v_add_f16_e32 v102, v102, v103
	v_fma_f16 v103, v60, s4, v116
	v_add_f16_e32 v102, v102, v103
	v_add_co_u32_e32 v0, vcc, v20, v0
	v_addc_co_u32_e32 v1, vcc, v21, v1, vcc
	v_pack_b32_f16 v3, v102, v101
	v_add_u32_e32 v12, 0x104, v16
	global_store_dword v[0:1], v3, off
	v_mov_b32_e32 v14, v2
	v_mad_u64_u32 v[2:3], s[0:1], s20, v12, 0
	v_lshlrev_b64 v[0:1], 2, v[13:14]
	v_add_u32_e32 v19, 0x138, v16
	v_mad_u64_u32 v[12:13], s[0:1], s21, v12, v[3:4]
	v_mad_u64_u32 v[13:14], s[0:1], s20, v19, 0
	v_add_f16_e32 v118, v118, v119
	v_add_co_u32_e32 v0, vcc, v20, v0
	v_addc_co_u32_e32 v1, vcc, v21, v1, vcc
	v_pack_b32_f16 v17, v118, v117
	v_mov_b32_e32 v3, v12
	global_store_dword v[0:1], v17, off
	v_lshlrev_b64 v[0:1], 2, v[2:3]
	v_mov_b32_e32 v2, v14
	v_mad_u64_u32 v[2:3], s[0:1], s21, v19, v[2:3]
	v_add_f16_e32 v134, v134, v135
	v_add_co_u32_e32 v0, vcc, v20, v0
	v_addc_co_u32_e32 v1, vcc, v21, v1, vcc
	v_pack_b32_f16 v3, v134, v133
	v_add_u32_e32 v12, 0x16c, v16
	global_store_dword v[0:1], v3, off
	v_mov_b32_e32 v14, v2
	v_mad_u64_u32 v[2:3], s[0:1], s20, v12, 0
	v_lshlrev_b64 v[0:1], 2, v[13:14]
	v_add_u32_e32 v19, 0x1a0, v16
	v_mad_u64_u32 v[12:13], s[0:1], s21, v12, v[3:4]
	v_mad_u64_u32 v[13:14], s[0:1], s20, v19, 0
	v_add_f16_e32 v150, v150, v151
	v_fma_f16 v151, v60, s6, v164
	v_add_f16_e32 v150, v150, v151
	v_add_co_u32_e32 v0, vcc, v20, v0
	v_addc_co_u32_e32 v1, vcc, v21, v1, vcc
	v_pack_b32_f16 v17, v150, v149
	v_mov_b32_e32 v3, v12
	global_store_dword v[0:1], v17, off
	v_lshlrev_b64 v[0:1], 2, v[2:3]
	v_mov_b32_e32 v2, v14
	v_mad_u64_u32 v[2:3], s[0:1], s21, v19, v[2:3]
	v_add_f16_e32 v166, v166, v167
	v_fma_f16 v167, v60, s5, v180
	v_add_f16_e32 v166, v166, v167
	v_add_co_u32_e32 v0, vcc, v20, v0
	v_addc_co_u32_e32 v1, vcc, v21, v1, vcc
	v_pack_b32_f16 v3, v166, v165
	v_add_u32_e32 v12, 0x1d4, v16
	global_store_dword v[0:1], v3, off
	v_mov_b32_e32 v14, v2
	v_mad_u64_u32 v[2:3], s[0:1], s20, v12, 0
	v_lshlrev_b64 v[0:1], 2, v[13:14]
	v_add_u32_e32 v19, 0x208, v16
	v_mad_u64_u32 v[12:13], s[0:1], s21, v12, v[3:4]
	v_mad_u64_u32 v[13:14], s[0:1], s20, v19, 0
	v_add_f16_e32 v182, v182, v183
	v_add_co_u32_e32 v0, vcc, v20, v0
	v_addc_co_u32_e32 v1, vcc, v21, v1, vcc
	v_pack_b32_f16 v17, v182, v181
	v_mov_b32_e32 v3, v12
	global_store_dword v[0:1], v17, off
	v_lshlrev_b64 v[0:1], 2, v[2:3]
	v_mov_b32_e32 v2, v14
	v_mad_u64_u32 v[2:3], s[0:1], s21, v19, v[2:3]
	v_add_f16_e32 v91, v91, v197
	v_add_co_u32_e32 v0, vcc, v20, v0
	v_addc_co_u32_e32 v1, vcc, v21, v1, vcc
	v_pack_b32_f16 v3, v91, v88
	v_add_u32_e32 v12, 0x23c, v16
	global_store_dword v[0:1], v3, off
	v_mov_b32_e32 v14, v2
	v_mad_u64_u32 v[2:3], s[0:1], s20, v12, 0
	v_lshlrev_b64 v[0:1], 2, v[13:14]
	v_add_u32_e32 v19, 0x270, v16
	v_mad_u64_u32 v[12:13], s[0:1], s21, v12, v[3:4]
	v_mad_u64_u32 v[13:14], s[0:1], s20, v19, 0
	v_add_co_u32_e32 v0, vcc, v20, v0
	v_addc_co_u32_e32 v1, vcc, v21, v1, vcc
	v_pack_b32_f16 v17, v71, v65
	v_mov_b32_e32 v3, v12
	global_store_dword v[0:1], v17, off
	v_lshlrev_b64 v[0:1], 2, v[2:3]
	v_mov_b32_e32 v2, v14
	v_mad_u64_u32 v[2:3], s[0:1], s21, v19, v[2:3]
	v_add_co_u32_e32 v0, vcc, v20, v0
	v_addc_co_u32_e32 v1, vcc, v21, v1, vcc
	v_pack_b32_f16 v3, v48, v33
	v_add_u32_e32 v12, 0x2a4, v16
	global_store_dword v[0:1], v3, off
	v_mov_b32_e32 v14, v2
	v_mad_u64_u32 v[2:3], s[0:1], s20, v12, 0
	v_lshlrev_b64 v[0:1], 2, v[13:14]
	v_pack_b32_f16 v13, v11, v10
	v_mad_u64_u32 v[10:11], s[0:1], s21, v12, v[3:4]
	v_add_u32_e32 v14, 0x2d8, v16
	v_mad_u64_u32 v[11:12], s[0:1], s20, v14, 0
	v_add_co_u32_e32 v0, vcc, v20, v0
	v_addc_co_u32_e32 v1, vcc, v21, v1, vcc
	v_mov_b32_e32 v3, v10
	global_store_dword v[0:1], v13, off
	v_lshlrev_b64 v[0:1], 2, v[2:3]
	v_mov_b32_e32 v2, v12
	v_mad_u64_u32 v[2:3], s[0:1], s21, v14, v[2:3]
	v_add_co_u32_e32 v0, vcc, v20, v0
	v_addc_co_u32_e32 v1, vcc, v21, v1, vcc
	v_pack_b32_f16 v3, v9, v8
	v_add_u32_e32 v8, 0x30c, v16
	global_store_dword v[0:1], v3, off
	v_mov_b32_e32 v12, v2
	v_mad_u64_u32 v[2:3], s[0:1], s20, v8, 0
	v_pack_b32_f16 v9, v7, v6
	v_or_b32_e32 v10, 0x340, v16
	v_mad_u64_u32 v[6:7], s[0:1], s21, v8, v[3:4]
	v_lshlrev_b64 v[0:1], 2, v[11:12]
	v_mad_u64_u32 v[7:8], s[0:1], s20, v10, 0
	v_add_co_u32_e32 v0, vcc, v20, v0
	v_addc_co_u32_e32 v1, vcc, v21, v1, vcc
	v_mov_b32_e32 v3, v6
	global_store_dword v[0:1], v9, off
	v_lshlrev_b64 v[0:1], 2, v[2:3]
	v_mov_b32_e32 v2, v8
	v_mad_u64_u32 v[2:3], s[0:1], s21, v10, v[2:3]
	v_add_co_u32_e32 v0, vcc, v20, v0
	v_addc_co_u32_e32 v1, vcc, v21, v1, vcc
	v_pack_b32_f16 v3, v5, v4
	v_mov_b32_e32 v8, v2
	global_store_dword v[0:1], v3, off
	v_lshlrev_b64 v[0:1], 2, v[7:8]
	v_pack_b32_f16 v2, v15, v18
	v_add_co_u32_e32 v0, vcc, v20, v0
	v_addc_co_u32_e32 v1, vcc, v21, v1, vcc
	global_store_dword v[0:1], v2, off
.LBB0_26:
	s_endpgm
	.section	.rodata,"a",@progbits
	.p2align	6, 0x0
	.amdhsa_kernel fft_rtc_back_len884_factors_13_4_17_wgs_204_tpt_68_halfLds_half_op_CI_CI_sbrr_dirReg
		.amdhsa_group_segment_fixed_size 0
		.amdhsa_private_segment_fixed_size 0
		.amdhsa_kernarg_size 104
		.amdhsa_user_sgpr_count 6
		.amdhsa_user_sgpr_private_segment_buffer 1
		.amdhsa_user_sgpr_dispatch_ptr 0
		.amdhsa_user_sgpr_queue_ptr 0
		.amdhsa_user_sgpr_kernarg_segment_ptr 1
		.amdhsa_user_sgpr_dispatch_id 0
		.amdhsa_user_sgpr_flat_scratch_init 0
		.amdhsa_user_sgpr_private_segment_size 0
		.amdhsa_uses_dynamic_stack 0
		.amdhsa_system_sgpr_private_segment_wavefront_offset 0
		.amdhsa_system_sgpr_workgroup_id_x 1
		.amdhsa_system_sgpr_workgroup_id_y 0
		.amdhsa_system_sgpr_workgroup_id_z 0
		.amdhsa_system_sgpr_workgroup_info 0
		.amdhsa_system_vgpr_workitem_id 0
		.amdhsa_next_free_vgpr 198
		.amdhsa_next_free_sgpr 49
		.amdhsa_reserve_vcc 1
		.amdhsa_reserve_flat_scratch 0
		.amdhsa_float_round_mode_32 0
		.amdhsa_float_round_mode_16_64 0
		.amdhsa_float_denorm_mode_32 3
		.amdhsa_float_denorm_mode_16_64 3
		.amdhsa_dx10_clamp 1
		.amdhsa_ieee_mode 1
		.amdhsa_fp16_overflow 0
		.amdhsa_exception_fp_ieee_invalid_op 0
		.amdhsa_exception_fp_denorm_src 0
		.amdhsa_exception_fp_ieee_div_zero 0
		.amdhsa_exception_fp_ieee_overflow 0
		.amdhsa_exception_fp_ieee_underflow 0
		.amdhsa_exception_fp_ieee_inexact 0
		.amdhsa_exception_int_div_zero 0
	.end_amdhsa_kernel
	.text
.Lfunc_end0:
	.size	fft_rtc_back_len884_factors_13_4_17_wgs_204_tpt_68_halfLds_half_op_CI_CI_sbrr_dirReg, .Lfunc_end0-fft_rtc_back_len884_factors_13_4_17_wgs_204_tpt_68_halfLds_half_op_CI_CI_sbrr_dirReg
                                        ; -- End function
	.section	.AMDGPU.csdata,"",@progbits
; Kernel info:
; codeLenInByte = 12672
; NumSgprs: 53
; NumVgprs: 198
; ScratchSize: 0
; MemoryBound: 0
; FloatMode: 240
; IeeeMode: 1
; LDSByteSize: 0 bytes/workgroup (compile time only)
; SGPRBlocks: 6
; VGPRBlocks: 49
; NumSGPRsForWavesPerEU: 53
; NumVGPRsForWavesPerEU: 198
; Occupancy: 1
; WaveLimiterHint : 1
; COMPUTE_PGM_RSRC2:SCRATCH_EN: 0
; COMPUTE_PGM_RSRC2:USER_SGPR: 6
; COMPUTE_PGM_RSRC2:TRAP_HANDLER: 0
; COMPUTE_PGM_RSRC2:TGID_X_EN: 1
; COMPUTE_PGM_RSRC2:TGID_Y_EN: 0
; COMPUTE_PGM_RSRC2:TGID_Z_EN: 0
; COMPUTE_PGM_RSRC2:TIDIG_COMP_CNT: 0
	.type	__hip_cuid_37cb323d023d5d39,@object ; @__hip_cuid_37cb323d023d5d39
	.section	.bss,"aw",@nobits
	.globl	__hip_cuid_37cb323d023d5d39
__hip_cuid_37cb323d023d5d39:
	.byte	0                               ; 0x0
	.size	__hip_cuid_37cb323d023d5d39, 1

	.ident	"AMD clang version 19.0.0git (https://github.com/RadeonOpenCompute/llvm-project roc-6.4.0 25133 c7fe45cf4b819c5991fe208aaa96edf142730f1d)"
	.section	".note.GNU-stack","",@progbits
	.addrsig
	.addrsig_sym __hip_cuid_37cb323d023d5d39
	.amdgpu_metadata
---
amdhsa.kernels:
  - .args:
      - .actual_access:  read_only
        .address_space:  global
        .offset:         0
        .size:           8
        .value_kind:     global_buffer
      - .offset:         8
        .size:           8
        .value_kind:     by_value
      - .actual_access:  read_only
        .address_space:  global
        .offset:         16
        .size:           8
        .value_kind:     global_buffer
      - .actual_access:  read_only
        .address_space:  global
        .offset:         24
        .size:           8
        .value_kind:     global_buffer
      - .actual_access:  read_only
        .address_space:  global
        .offset:         32
        .size:           8
        .value_kind:     global_buffer
      - .offset:         40
        .size:           8
        .value_kind:     by_value
      - .actual_access:  read_only
        .address_space:  global
        .offset:         48
        .size:           8
        .value_kind:     global_buffer
      - .actual_access:  read_only
        .address_space:  global
        .offset:         56
        .size:           8
        .value_kind:     global_buffer
      - .offset:         64
        .size:           4
        .value_kind:     by_value
      - .actual_access:  read_only
        .address_space:  global
        .offset:         72
        .size:           8
        .value_kind:     global_buffer
      - .actual_access:  read_only
        .address_space:  global
        .offset:         80
        .size:           8
        .value_kind:     global_buffer
      - .actual_access:  read_only
        .address_space:  global
        .offset:         88
        .size:           8
        .value_kind:     global_buffer
      - .actual_access:  write_only
        .address_space:  global
        .offset:         96
        .size:           8
        .value_kind:     global_buffer
    .group_segment_fixed_size: 0
    .kernarg_segment_align: 8
    .kernarg_segment_size: 104
    .language:       OpenCL C
    .language_version:
      - 2
      - 0
    .max_flat_workgroup_size: 204
    .name:           fft_rtc_back_len884_factors_13_4_17_wgs_204_tpt_68_halfLds_half_op_CI_CI_sbrr_dirReg
    .private_segment_fixed_size: 0
    .sgpr_count:     53
    .sgpr_spill_count: 0
    .symbol:         fft_rtc_back_len884_factors_13_4_17_wgs_204_tpt_68_halfLds_half_op_CI_CI_sbrr_dirReg.kd
    .uniform_work_group_size: 1
    .uses_dynamic_stack: false
    .vgpr_count:     198
    .vgpr_spill_count: 0
    .wavefront_size: 64
amdhsa.target:   amdgcn-amd-amdhsa--gfx906
amdhsa.version:
  - 1
  - 2
...

	.end_amdgpu_metadata
